;; amdgpu-corpus repo=ROCm/rocFFT kind=compiled arch=gfx1030 opt=O3
	.text
	.amdgcn_target "amdgcn-amd-amdhsa--gfx1030"
	.amdhsa_code_object_version 6
	.protected	fft_rtc_back_len1156_factors_17_2_17_2_wgs_204_tpt_68_halfLds_sp_ip_CI_unitstride_sbrr_C2R_dirReg ; -- Begin function fft_rtc_back_len1156_factors_17_2_17_2_wgs_204_tpt_68_halfLds_sp_ip_CI_unitstride_sbrr_C2R_dirReg
	.globl	fft_rtc_back_len1156_factors_17_2_17_2_wgs_204_tpt_68_halfLds_sp_ip_CI_unitstride_sbrr_C2R_dirReg
	.p2align	8
	.type	fft_rtc_back_len1156_factors_17_2_17_2_wgs_204_tpt_68_halfLds_sp_ip_CI_unitstride_sbrr_C2R_dirReg,@function
fft_rtc_back_len1156_factors_17_2_17_2_wgs_204_tpt_68_halfLds_sp_ip_CI_unitstride_sbrr_C2R_dirReg: ; @fft_rtc_back_len1156_factors_17_2_17_2_wgs_204_tpt_68_halfLds_sp_ip_CI_unitstride_sbrr_C2R_dirReg
; %bb.0:
	s_load_dwordx4 s[8:11], s[4:5], 0x0
	v_mul_u32_u24_e32 v1, 0x3c4, v0
	s_clause 0x1
	s_load_dwordx2 s[2:3], s[4:5], 0x50
	s_load_dwordx2 s[12:13], s[4:5], 0x18
	v_mov_b32_e32 v5, 0
	v_mov_b32_e32 v3, 0
	;; [unrolled: 1-line block ×3, first 2 shown]
	v_lshrrev_b32_e32 v1, 16, v1
	v_mad_u64_u32 v[1:2], null, s6, 3, v[1:2]
	v_mov_b32_e32 v2, v5
	v_mov_b32_e32 v10, v2
	;; [unrolled: 1-line block ×3, first 2 shown]
	s_waitcnt lgkmcnt(0)
	v_cmp_lt_u64_e64 s0, s[10:11], 2
	s_and_b32 vcc_lo, exec_lo, s0
	s_cbranch_vccnz .LBB0_8
; %bb.1:
	s_load_dwordx2 s[0:1], s[4:5], 0x10
	v_mov_b32_e32 v3, 0
	v_mov_b32_e32 v8, v2
	s_add_u32 s6, s12, 8
	v_mov_b32_e32 v4, 0
	v_mov_b32_e32 v7, v1
	s_addc_u32 s7, s13, 0
	s_mov_b64 s[16:17], 1
	s_waitcnt lgkmcnt(0)
	s_add_u32 s14, s0, 8
	s_addc_u32 s15, s1, 0
.LBB0_2:                                ; =>This Inner Loop Header: Depth=1
	s_load_dwordx2 s[18:19], s[14:15], 0x0
                                        ; implicit-def: $vgpr9_vgpr10
	s_mov_b32 s0, exec_lo
	s_waitcnt lgkmcnt(0)
	v_or_b32_e32 v6, s19, v8
	v_cmpx_ne_u64_e32 0, v[5:6]
	s_xor_b32 s1, exec_lo, s0
	s_cbranch_execz .LBB0_4
; %bb.3:                                ;   in Loop: Header=BB0_2 Depth=1
	v_cvt_f32_u32_e32 v2, s18
	v_cvt_f32_u32_e32 v6, s19
	s_sub_u32 s0, 0, s18
	s_subb_u32 s20, 0, s19
	v_fmac_f32_e32 v2, 0x4f800000, v6
	v_rcp_f32_e32 v2, v2
	v_mul_f32_e32 v2, 0x5f7ffffc, v2
	v_mul_f32_e32 v6, 0x2f800000, v2
	v_trunc_f32_e32 v6, v6
	v_fmac_f32_e32 v2, 0xcf800000, v6
	v_cvt_u32_f32_e32 v6, v6
	v_cvt_u32_f32_e32 v2, v2
	v_mul_lo_u32 v9, s0, v6
	v_mul_hi_u32 v10, s0, v2
	v_mul_lo_u32 v11, s20, v2
	v_add_nc_u32_e32 v9, v10, v9
	v_mul_lo_u32 v10, s0, v2
	v_add_nc_u32_e32 v9, v9, v11
	v_mul_hi_u32 v11, v2, v10
	v_mul_lo_u32 v12, v2, v9
	v_mul_hi_u32 v13, v2, v9
	v_mul_hi_u32 v14, v6, v10
	v_mul_lo_u32 v10, v6, v10
	v_mul_hi_u32 v15, v6, v9
	v_mul_lo_u32 v9, v6, v9
	v_add_co_u32 v11, vcc_lo, v11, v12
	v_add_co_ci_u32_e32 v12, vcc_lo, 0, v13, vcc_lo
	v_add_co_u32 v10, vcc_lo, v11, v10
	v_add_co_ci_u32_e32 v10, vcc_lo, v12, v14, vcc_lo
	v_add_co_ci_u32_e32 v11, vcc_lo, 0, v15, vcc_lo
	v_add_co_u32 v9, vcc_lo, v10, v9
	v_add_co_ci_u32_e32 v10, vcc_lo, 0, v11, vcc_lo
	v_add_co_u32 v2, vcc_lo, v2, v9
	v_add_co_ci_u32_e32 v6, vcc_lo, v6, v10, vcc_lo
	v_mul_hi_u32 v9, s0, v2
	v_mul_lo_u32 v11, s20, v2
	v_mul_lo_u32 v10, s0, v6
	v_add_nc_u32_e32 v9, v9, v10
	v_mul_lo_u32 v10, s0, v2
	v_add_nc_u32_e32 v9, v9, v11
	v_mul_hi_u32 v11, v2, v10
	v_mul_lo_u32 v12, v2, v9
	v_mul_hi_u32 v13, v2, v9
	v_mul_hi_u32 v14, v6, v10
	v_mul_lo_u32 v10, v6, v10
	v_mul_hi_u32 v15, v6, v9
	v_mul_lo_u32 v9, v6, v9
	v_add_co_u32 v11, vcc_lo, v11, v12
	v_add_co_ci_u32_e32 v12, vcc_lo, 0, v13, vcc_lo
	v_add_co_u32 v10, vcc_lo, v11, v10
	v_add_co_ci_u32_e32 v10, vcc_lo, v12, v14, vcc_lo
	v_add_co_ci_u32_e32 v11, vcc_lo, 0, v15, vcc_lo
	v_add_co_u32 v9, vcc_lo, v10, v9
	v_add_co_ci_u32_e32 v10, vcc_lo, 0, v11, vcc_lo
	v_add_co_u32 v2, vcc_lo, v2, v9
	v_add_co_ci_u32_e32 v6, vcc_lo, v6, v10, vcc_lo
	v_mul_hi_u32 v15, v7, v2
	v_mad_u64_u32 v[11:12], null, v8, v2, 0
	v_mad_u64_u32 v[9:10], null, v7, v6, 0
	v_mad_u64_u32 v[13:14], null, v8, v6, 0
	v_add_co_u32 v2, vcc_lo, v15, v9
	v_add_co_ci_u32_e32 v6, vcc_lo, 0, v10, vcc_lo
	v_add_co_u32 v2, vcc_lo, v2, v11
	v_add_co_ci_u32_e32 v2, vcc_lo, v6, v12, vcc_lo
	v_add_co_ci_u32_e32 v6, vcc_lo, 0, v14, vcc_lo
	v_add_co_u32 v2, vcc_lo, v2, v13
	v_add_co_ci_u32_e32 v6, vcc_lo, 0, v6, vcc_lo
	v_mul_lo_u32 v11, s19, v2
	v_mad_u64_u32 v[9:10], null, s18, v2, 0
	v_mul_lo_u32 v12, s18, v6
	v_sub_co_u32 v9, vcc_lo, v7, v9
	v_add3_u32 v10, v10, v12, v11
	v_sub_nc_u32_e32 v11, v8, v10
	v_subrev_co_ci_u32_e64 v11, s0, s19, v11, vcc_lo
	v_add_co_u32 v12, s0, v2, 2
	v_add_co_ci_u32_e64 v13, s0, 0, v6, s0
	v_sub_co_u32 v14, s0, v9, s18
	v_sub_co_ci_u32_e32 v10, vcc_lo, v8, v10, vcc_lo
	v_subrev_co_ci_u32_e64 v11, s0, 0, v11, s0
	v_cmp_le_u32_e32 vcc_lo, s18, v14
	v_cmp_eq_u32_e64 s0, s19, v10
	v_cndmask_b32_e64 v14, 0, -1, vcc_lo
	v_cmp_le_u32_e32 vcc_lo, s19, v11
	v_cndmask_b32_e64 v15, 0, -1, vcc_lo
	v_cmp_le_u32_e32 vcc_lo, s18, v9
	;; [unrolled: 2-line block ×3, first 2 shown]
	v_cndmask_b32_e64 v16, 0, -1, vcc_lo
	v_cmp_eq_u32_e32 vcc_lo, s19, v11
	v_cndmask_b32_e64 v9, v16, v9, s0
	v_cndmask_b32_e32 v11, v15, v14, vcc_lo
	v_add_co_u32 v14, vcc_lo, v2, 1
	v_add_co_ci_u32_e32 v15, vcc_lo, 0, v6, vcc_lo
	v_cmp_ne_u32_e32 vcc_lo, 0, v11
	v_cndmask_b32_e32 v10, v15, v13, vcc_lo
	v_cndmask_b32_e32 v11, v14, v12, vcc_lo
	v_cmp_ne_u32_e32 vcc_lo, 0, v9
	v_cndmask_b32_e32 v10, v6, v10, vcc_lo
	v_cndmask_b32_e32 v9, v2, v11, vcc_lo
.LBB0_4:                                ;   in Loop: Header=BB0_2 Depth=1
	s_andn2_saveexec_b32 s0, s1
	s_cbranch_execz .LBB0_6
; %bb.5:                                ;   in Loop: Header=BB0_2 Depth=1
	v_cvt_f32_u32_e32 v2, s18
	s_sub_i32 s1, 0, s18
	v_rcp_iflag_f32_e32 v2, v2
	v_mul_f32_e32 v2, 0x4f7ffffe, v2
	v_cvt_u32_f32_e32 v2, v2
	v_mul_lo_u32 v6, s1, v2
	v_mul_hi_u32 v6, v2, v6
	v_add_nc_u32_e32 v2, v2, v6
	v_mul_hi_u32 v2, v7, v2
	v_mul_lo_u32 v6, v2, s18
	v_add_nc_u32_e32 v9, 1, v2
	v_sub_nc_u32_e32 v6, v7, v6
	v_subrev_nc_u32_e32 v10, s18, v6
	v_cmp_le_u32_e32 vcc_lo, s18, v6
	v_cndmask_b32_e32 v6, v6, v10, vcc_lo
	v_cndmask_b32_e32 v2, v2, v9, vcc_lo
	v_mov_b32_e32 v10, v5
	v_cmp_le_u32_e32 vcc_lo, s18, v6
	v_add_nc_u32_e32 v9, 1, v2
	v_cndmask_b32_e32 v9, v2, v9, vcc_lo
.LBB0_6:                                ;   in Loop: Header=BB0_2 Depth=1
	s_or_b32 exec_lo, exec_lo, s0
	s_load_dwordx2 s[0:1], s[6:7], 0x0
	v_mul_lo_u32 v2, v10, s18
	v_mul_lo_u32 v6, v9, s19
	v_mad_u64_u32 v[11:12], null, v9, s18, 0
	s_add_u32 s16, s16, 1
	s_addc_u32 s17, s17, 0
	s_add_u32 s6, s6, 8
	s_addc_u32 s7, s7, 0
	;; [unrolled: 2-line block ×3, first 2 shown]
	v_add3_u32 v2, v12, v6, v2
	v_sub_co_u32 v6, vcc_lo, v7, v11
	v_sub_co_ci_u32_e32 v2, vcc_lo, v8, v2, vcc_lo
	s_waitcnt lgkmcnt(0)
	v_mul_lo_u32 v7, s1, v6
	v_mul_lo_u32 v2, s0, v2
	v_mad_u64_u32 v[3:4], null, s0, v6, v[3:4]
	v_cmp_ge_u64_e64 s0, s[16:17], s[10:11]
	s_and_b32 vcc_lo, exec_lo, s0
	v_add3_u32 v4, v7, v4, v2
	s_cbranch_vccnz .LBB0_8
; %bb.7:                                ;   in Loop: Header=BB0_2 Depth=1
	v_mov_b32_e32 v7, v9
	v_mov_b32_e32 v8, v10
	s_branch .LBB0_2
.LBB0_8:
	s_lshl_b64 s[0:1], s[10:11], 3
	v_mul_hi_u32 v2, 0xaaaaaaab, v1
	s_add_u32 s0, s12, s0
	s_addc_u32 s1, s13, s1
	s_load_dwordx2 s[4:5], s[4:5], 0x20
	s_load_dwordx2 s[0:1], s[0:1], 0x0
	v_mul_hi_u32 v5, 0x3c3c3c4, v0
	v_lshrrev_b32_e32 v2, 1, v2
	v_lshl_add_u32 v6, v2, 1, v2
	v_sub_nc_u32_e32 v1, v1, v6
	s_waitcnt lgkmcnt(0)
	v_cmp_gt_u64_e32 vcc_lo, s[4:5], v[9:10]
	v_mul_lo_u32 v7, s0, v10
	v_mul_lo_u32 v8, s1, v9
	v_mad_u64_u32 v[2:3], null, s0, v9, v[3:4]
	v_mul_u32_u24_e32 v4, 0x44, v5
	v_mul_u32_u24_e32 v47, 0x485, v1
	v_mov_b32_e32 v1, 0
	v_sub_nc_u32_e32 v0, v0, v4
	v_add3_u32 v3, v8, v3, v7
	v_lshlrev_b32_e32 v44, 3, v47
	v_mov_b32_e32 v28, v0
	v_lshlrev_b64 v[30:31], 3, v[2:3]
	s_and_saveexec_b32 s1, vcc_lo
	s_cbranch_execz .LBB0_12
; %bb.9:
	v_lshlrev_b64 v[5:6], 3, v[0:1]
	v_add_co_u32 v3, s0, s2, v30
	v_add_co_ci_u32_e64 v4, s0, s3, v31, s0
	v_lshlrev_b32_e32 v2, 3, v0
	v_add_co_u32 v5, s0, v3, v5
	v_add_co_ci_u32_e64 v6, s0, v4, v6, s0
	s_mov_b32 s4, exec_lo
	v_add_co_u32 v15, s0, 0x800, v5
	v_add_co_ci_u32_e64 v16, s0, 0, v6, s0
	v_add_co_u32 v17, s0, 0x1000, v5
	v_add_co_ci_u32_e64 v18, s0, 0, v6, s0
	v_add_co_u32 v34, s0, 0x1800, v5
	v_add_co_ci_u32_e64 v35, s0, 0, v6, s0
	s_clause 0x3
	global_load_dwordx2 v[7:8], v[5:6], off
	global_load_dwordx2 v[9:10], v[5:6], off offset:544
	global_load_dwordx2 v[11:12], v[5:6], off offset:1088
	global_load_dwordx2 v[13:14], v[5:6], off offset:1632
	v_add_co_u32 v5, s0, 0x2000, v5
	v_add_co_ci_u32_e64 v6, s0, 0, v6, s0
	s_clause 0xc
	global_load_dwordx2 v[19:20], v[15:16], off offset:128
	global_load_dwordx2 v[21:22], v[15:16], off offset:672
	;; [unrolled: 1-line block ×13, first 2 shown]
	v_add3_u32 v5, 0, v44, v2
	v_mov_b32_e32 v2, v1
	v_mov_b32_e32 v1, v0
	v_add_nc_u32_e32 v6, 0x800, v5
	v_add_nc_u32_e32 v29, 0x1000, v5
	;; [unrolled: 1-line block ×3, first 2 shown]
	s_waitcnt vmcnt(15)
	ds_write2_b64 v5, v[7:8], v[9:10] offset1:68
	s_waitcnt vmcnt(13)
	ds_write2_b64 v5, v[11:12], v[13:14] offset0:136 offset1:204
	s_waitcnt vmcnt(11)
	ds_write2_b64 v6, v[19:20], v[21:22] offset0:16 offset1:84
	;; [unrolled: 2-line block ×7, first 2 shown]
	s_waitcnt vmcnt(0)
	ds_write_b64 v5, v[42:43] offset:8704
	v_cmpx_eq_u32_e32 0x43, v0
	s_cbranch_execz .LBB0_11
; %bb.10:
	v_add_co_u32 v0, s0, 0x2000, v3
	v_add_co_ci_u32_e64 v1, s0, 0, v4, s0
	global_load_dwordx2 v[3:4], v[0:1], off offset:1056
	v_mov_b32_e32 v1, 0x43
	v_mov_b32_e32 v2, 0
	;; [unrolled: 1-line block ×3, first 2 shown]
	s_waitcnt vmcnt(0)
	ds_write_b64 v5, v[3:4] offset:8712
.LBB0_11:
	s_or_b32 exec_lo, exec_lo, s4
	v_mov_b32_e32 v28, v0
	v_mov_b32_e32 v0, v1
	;; [unrolled: 1-line block ×3, first 2 shown]
.LBB0_12:
	s_or_b32 exec_lo, exec_lo, s1
	v_lshl_add_u32 v46, v47, 3, 0
	v_lshlrev_b32_e32 v2, 3, v28
	s_waitcnt lgkmcnt(0)
	s_barrier
	buffer_gl0_inv
	v_lshlrev_b64 v[32:33], 3, v[0:1]
	v_add_nc_u32_e32 v45, v46, v2
	v_sub_nc_u32_e32 v4, v46, v2
	s_add_u32 s1, s8, 0x2398
	s_addc_u32 s4, s9, 0
	ds_read_b32 v5, v45
	ds_read_b32 v6, v4 offset:9248
	s_mov_b32 s5, exec_lo
	s_waitcnt lgkmcnt(0)
	v_add_f32_e32 v2, v6, v5
	v_sub_f32_e32 v3, v5, v6
	v_cmpx_ne_u32_e32 0, v28
	s_xor_b32 s5, exec_lo, s5
	s_cbranch_execz .LBB0_14
; %bb.13:
	v_add_co_u32 v0, s0, s1, v32
	v_add_co_ci_u32_e64 v1, s0, s4, v33, s0
	v_add_f32_e32 v7, v6, v5
	v_sub_f32_e32 v8, v5, v6
	global_load_dwordx2 v[0:1], v[0:1], off
	ds_read_b32 v2, v4 offset:9252
	ds_read_b32 v3, v45 offset:4
	s_waitcnt lgkmcnt(0)
	v_add_f32_e32 v9, v2, v3
	v_sub_f32_e32 v2, v3, v2
	s_waitcnt vmcnt(0)
	v_fma_f32 v5, -v8, v1, v7
	v_fma_f32 v6, v9, v1, -v2
	v_fma_f32 v10, v8, v1, v7
	v_fma_f32 v3, v9, v1, v2
	v_fmac_f32_e32 v5, v0, v9
	v_fmac_f32_e32 v6, v8, v0
	v_fma_f32 v2, -v0, v9, v10
	v_fmac_f32_e32 v3, v8, v0
	ds_write_b64 v4, v[5:6] offset:9248
.LBB0_14:
	s_andn2_saveexec_b32 s0, s5
	s_cbranch_execz .LBB0_16
; %bb.15:
	ds_read_b64 v[0:1], v46 offset:4624
	s_waitcnt lgkmcnt(0)
	v_add_f32_e32 v0, v0, v0
	v_mul_f32_e32 v1, -2.0, v1
	ds_write_b64 v46, v[0:1] offset:4624
.LBB0_16:
	s_or_b32 exec_lo, exec_lo, s0
	v_mov_b32_e32 v29, 0
	v_lshlrev_b64 v[34:35], 3, v[28:29]
	v_add_co_u32 v0, s0, s1, v34
	v_add_co_ci_u32_e64 v1, s0, s4, v35, s0
	s_clause 0x2
	global_load_dwordx2 v[5:6], v[0:1], off offset:544
	global_load_dwordx2 v[7:8], v[0:1], off offset:1088
	;; [unrolled: 1-line block ×3, first 2 shown]
	v_add_co_u32 v11, s0, 0x800, v0
	v_add_co_ci_u32_e64 v12, s0, 0, v1, s0
	s_clause 0x3
	global_load_dwordx2 v[13:14], v[11:12], off offset:128
	global_load_dwordx2 v[15:16], v[11:12], off offset:672
	;; [unrolled: 1-line block ×4, first 2 shown]
	ds_write_b64 v45, v[2:3]
	ds_read_b64 v[2:3], v45 offset:544
	ds_read_b64 v[19:20], v4 offset:8704
	v_cmp_gt_u32_e64 s0, 34, v28
	s_waitcnt lgkmcnt(0)
	v_add_f32_e32 v21, v2, v19
	v_add_f32_e32 v22, v20, v3
	v_sub_f32_e32 v23, v2, v19
	v_sub_f32_e32 v2, v3, v20
	s_waitcnt vmcnt(6)
	v_fma_f32 v24, v23, v6, v21
	v_fma_f32 v3, v22, v6, v2
	v_fma_f32 v19, -v23, v6, v21
	v_fma_f32 v20, v22, v6, -v2
	v_fma_f32 v2, -v5, v22, v24
	v_fmac_f32_e32 v3, v23, v5
	v_fmac_f32_e32 v19, v5, v22
	v_fmac_f32_e32 v20, v23, v5
	ds_write_b64 v45, v[2:3] offset:544
	ds_write_b64 v4, v[19:20] offset:8704
	ds_read_b64 v[2:3], v45 offset:1088
	ds_read_b64 v[5:6], v4 offset:8160
	s_waitcnt lgkmcnt(0)
	v_add_f32_e32 v19, v2, v5
	v_add_f32_e32 v20, v6, v3
	v_sub_f32_e32 v21, v2, v5
	v_sub_f32_e32 v2, v3, v6
	s_waitcnt vmcnt(5)
	v_fma_f32 v22, v21, v8, v19
	v_fma_f32 v3, v20, v8, v2
	v_fma_f32 v5, -v21, v8, v19
	v_fma_f32 v6, v20, v8, -v2
	v_fma_f32 v2, -v7, v20, v22
	v_fmac_f32_e32 v3, v21, v7
	v_fmac_f32_e32 v5, v7, v20
	v_fmac_f32_e32 v6, v21, v7
	ds_write_b64 v45, v[2:3] offset:1088
	ds_write_b64 v4, v[5:6] offset:8160
	ds_read_b64 v[2:3], v45 offset:1632
	ds_read_b64 v[5:6], v4 offset:7616
	;; [unrolled: 18-line block ×6, first 2 shown]
	s_waitcnt lgkmcnt(0)
	v_add_f32_e32 v7, v2, v5
	v_add_f32_e32 v8, v6, v3
	v_sub_f32_e32 v9, v2, v5
	v_sub_f32_e32 v2, v3, v6
	s_waitcnt vmcnt(0)
	v_fma_f32 v10, v9, v12, v7
	v_fma_f32 v3, v8, v12, v2
	v_fma_f32 v5, -v9, v12, v7
	v_fma_f32 v6, v8, v12, -v2
	v_fma_f32 v2, -v11, v8, v10
	v_fmac_f32_e32 v3, v9, v11
	v_fmac_f32_e32 v5, v11, v8
	;; [unrolled: 1-line block ×3, first 2 shown]
	ds_write_b64 v45, v[2:3] offset:3808
	ds_write_b64 v4, v[5:6] offset:5440
	s_and_saveexec_b32 s4, s0
	s_cbranch_execz .LBB0_18
; %bb.17:
	v_add_co_u32 v0, s1, 0x1000, v0
	v_add_co_ci_u32_e64 v1, s1, 0, v1, s1
	global_load_dwordx2 v[0:1], v[0:1], off offset:256
	ds_read_b64 v[2:3], v45 offset:4352
	ds_read_b64 v[5:6], v4 offset:4896
	s_waitcnt lgkmcnt(0)
	v_add_f32_e32 v7, v2, v5
	v_add_f32_e32 v8, v6, v3
	v_sub_f32_e32 v9, v2, v5
	v_sub_f32_e32 v3, v3, v6
	s_waitcnt vmcnt(0)
	v_fma_f32 v10, v9, v1, v7
	v_fma_f32 v2, v8, v1, v3
	v_fma_f32 v5, -v9, v1, v7
	v_fma_f32 v6, v8, v1, -v3
	v_fma_f32 v1, -v0, v8, v10
	v_fmac_f32_e32 v2, v9, v0
	v_fmac_f32_e32 v5, v0, v8
	;; [unrolled: 1-line block ×3, first 2 shown]
	ds_write_b64 v45, v[1:2] offset:4352
	ds_write_b64 v4, v[5:6] offset:4896
.LBB0_18:
	s_or_b32 exec_lo, exec_lo, s4
	v_lshl_add_u32 v48, v28, 3, 0
	s_waitcnt lgkmcnt(0)
	s_barrier
	buffer_gl0_inv
	v_add_nc_u32_e32 v29, v48, v44
	s_barrier
	buffer_gl0_inv
	ds_read_b64 v[36:37], v45
	ds_read2_b64 v[50:53], v29 offset0:68 offset1:136
	v_add_nc_u32_e32 v0, 0x1c00, v29
	v_add_nc_u32_e32 v42, 0x400, v29
	;; [unrolled: 1-line block ×5, first 2 shown]
	ds_read2_b64 v[8:11], v0 offset0:124 offset1:192
	v_add_nc_u32_e32 v0, 0x1400, v29
	ds_read2_b64 v[20:23], v42 offset0:76 offset1:144
	ds_read2_b64 v[12:15], v40 offset0:116 offset1:184
	;; [unrolled: 1-line block ×4, first 2 shown]
	v_add_nc_u32_e32 v43, 0x1000, v29
	ds_read2_b64 v[0:3], v49 offset0:92 offset1:160
	ds_read2_b64 v[4:7], v43 offset0:100 offset1:168
	s_waitcnt lgkmcnt(0)
	s_barrier
	buffer_gl0_inv
	v_add_f32_e32 v38, v36, v50
	v_add_f32_e32 v39, v37, v51
	v_add_f32_e32 v38, v38, v52
	v_add_f32_e32 v39, v39, v53
	v_add_f32_e32 v59, v9, v53
	v_sub_f32_e32 v60, v53, v9
	v_add_f32_e32 v53, v19, v25
	v_add_f32_e32 v38, v38, v20
	;; [unrolled: 1-line block ×3, first 2 shown]
	v_sub_f32_e32 v54, v25, v19
	v_add_f32_e32 v63, v10, v50
	v_add_f32_e32 v62, v11, v51
	;; [unrolled: 1-line block ×4, first 2 shown]
	v_sub_f32_e32 v61, v50, v10
	v_sub_f32_e32 v64, v51, v11
	v_add_f32_e32 v57, v8, v52
	v_add_f32_e32 v65, v65, v24
	;; [unrolled: 1-line block ×3, first 2 shown]
	v_sub_f32_e32 v58, v52, v8
	v_add_f32_e32 v51, v18, v24
	v_sub_f32_e32 v52, v24, v18
	v_add_f32_e32 v39, v16, v26
	v_add_f32_e32 v50, v17, v27
	v_sub_f32_e32 v38, v26, v16
	v_sub_f32_e32 v24, v27, v17
	v_add_f32_e32 v26, v65, v26
	v_add_f32_e32 v27, v25, v27
	;; [unrolled: 1-line block ×4, first 2 shown]
	v_sub_f32_e32 v66, v20, v14
	v_sub_f32_e32 v67, v21, v15
	v_add_f32_e32 v20, v12, v22
	v_sub_f32_e32 v21, v22, v12
	v_add_f32_e32 v22, v26, v0
	v_add_f32_e32 v26, v27, v1
	;; [unrolled: 1-line block ×3, first 2 shown]
	v_sub_f32_e32 v23, v23, v13
	v_mul_f32_e32 v27, 0xbeb8f4ab, v64
	v_add_f32_e32 v22, v22, v2
	v_add_f32_e32 v26, v26, v3
	v_mul_f32_e32 v65, 0xbf2c7751, v64
	v_mul_f32_e32 v68, 0xbf65296c, v64
	v_mul_f32_e32 v69, 0xbf7ee86f, v64
	v_add_f32_e32 v22, v22, v4
	v_add_f32_e32 v26, v26, v5
	v_mul_f32_e32 v70, 0xbf763a35, v64
	v_mul_f32_e32 v72, 0xbf06c442, v64
	v_fmamk_f32 v75, v63, 0x3f6eb680, v27
	v_add_f32_e32 v22, v22, v6
	v_add_f32_e32 v26, v26, v7
	v_mul_f32_e32 v77, 0xbf1a4643, v62
	v_mul_f32_e32 v79, 0xbf59a7d5, v62
	;; [unrolled: 1-line block ×3, first 2 shown]
	v_add_f32_e32 v16, v22, v16
	v_add_f32_e32 v17, v26, v17
	v_fma_f32 v22, 0x3f6eb680, v63, -v27
	v_fmamk_f32 v26, v63, 0x3f3d2fb0, v65
	v_fma_f32 v27, 0x3f3d2fb0, v63, -v65
	v_add_f32_e32 v16, v16, v18
	v_add_f32_e32 v17, v17, v19
	v_fmamk_f32 v18, v63, 0x3ee437d1, v68
	v_fma_f32 v19, 0x3ee437d1, v63, -v68
	v_fmamk_f32 v65, v63, 0x3dbcf732, v69
	v_add_f32_e32 v12, v16, v12
	v_add_f32_e32 v13, v17, v13
	v_fma_f32 v16, 0x3dbcf732, v63, -v69
	v_fmamk_f32 v17, v63, 0xbe8c1d8e, v70
	v_fma_f32 v68, 0xbe8c1d8e, v63, -v70
	v_add_f32_e32 v12, v12, v14
	v_add_f32_e32 v13, v13, v15
	v_fmamk_f32 v69, v63, 0xbf59a7d5, v72
	v_mul_f32_e32 v70, 0x3dbcf732, v62
	v_mul_f32_e32 v64, 0xbe3c28d5, v64
	v_add_f32_e32 v8, v12, v8
	v_add_f32_e32 v9, v13, v9
	v_fma_f32 v12, 0xbf59a7d5, v63, -v72
	v_mul_f32_e32 v72, 0xbe8c1d8e, v62
	v_mul_f32_e32 v73, 0x3f6eb680, v62
	;; [unrolled: 1-line block ×3, first 2 shown]
	v_add_f32_e32 v9, v9, v11
	v_mul_f32_e32 v11, 0x3ee437d1, v62
	v_fmamk_f32 v76, v61, 0x3f7ee86f, v70
	v_fmamk_f32 v78, v61, 0x3f763a35, v72
	v_mul_f32_e32 v62, 0xbf7ba420, v62
	v_fmamk_f32 v80, v61, 0x3f4c4adb, v77
	v_fmamk_f32 v81, v61, 0x3f06c442, v79
	;; [unrolled: 1-line block ×3, first 2 shown]
	v_fma_f32 v15, 0xbf1a4643, v63, -v71
	v_fmamk_f32 v13, v63, 0xbf7ba420, v64
	v_fma_f32 v63, 0xbf7ba420, v63, -v64
	v_add_f32_e32 v8, v8, v10
	v_fmamk_f32 v10, v61, 0x3eb8f4ab, v73
	v_fmac_f32_e32 v73, 0xbeb8f4ab, v61
	v_fmamk_f32 v64, v61, 0x3f2c7751, v74
	v_fmac_f32_e32 v74, 0xbf2c7751, v61
	;; [unrolled: 2-line block ×3, first 2 shown]
	v_fmac_f32_e32 v70, 0xbf7ee86f, v61
	v_fmac_f32_e32 v72, 0xbf763a35, v61
	;; [unrolled: 1-line block ×4, first 2 shown]
	v_fmamk_f32 v82, v61, 0x3e3c28d5, v62
	v_fmac_f32_e32 v62, 0xbe3c28d5, v61
	v_add_f32_e32 v61, v36, v75
	v_add_f32_e32 v75, v37, v76
	;; [unrolled: 1-line block ×5, first 2 shown]
	v_mul_f32_e32 v81, 0xbf2c7751, v60
	v_mul_f32_e32 v83, 0x3f3d2fb0, v59
	v_add_f32_e32 v10, v37, v10
	v_add_f32_e32 v22, v36, v22
	;; [unrolled: 1-line block ×25, first 2 shown]
	v_fmamk_f32 v84, v57, 0x3f3d2fb0, v81
	v_add_f32_e32 v36, v36, v63
	v_add_f32_e32 v37, v37, v62
	v_fmamk_f32 v62, v58, 0x3f2c7751, v83
	v_mul_f32_e32 v63, 0xbf7ee86f, v60
	v_fma_f32 v81, 0x3f3d2fb0, v57, -v81
	v_add_f32_e32 v61, v84, v61
	v_fmac_f32_e32 v83, 0xbf2c7751, v58
	v_add_f32_e32 v10, v62, v10
	v_fmamk_f32 v62, v57, 0x3dbcf732, v63
	v_mul_f32_e32 v84, 0x3dbcf732, v59
	v_add_f32_e32 v22, v81, v22
	v_mul_f32_e32 v81, 0xbf4c4adb, v60
	v_add_f32_e32 v73, v83, v73
	v_add_f32_e32 v26, v62, v26
	v_fmamk_f32 v62, v58, 0x3f7ee86f, v84
	v_fma_f32 v63, 0x3dbcf732, v57, -v63
	v_fmac_f32_e32 v84, 0xbf7ee86f, v58
	v_fmamk_f32 v83, v57, 0xbf1a4643, v81
	v_mul_f32_e32 v85, 0xbf1a4643, v59
	v_add_f32_e32 v62, v62, v64
	v_add_f32_e32 v27, v63, v27
	;; [unrolled: 1-line block ×4, first 2 shown]
	v_fmamk_f32 v64, v58, 0x3f4c4adb, v85
	v_mul_f32_e32 v74, 0xbe3c28d5, v60
	v_fma_f32 v81, 0xbf1a4643, v57, -v81
	v_mul_f32_e32 v83, 0xbf7ba420, v59
	v_mul_f32_e32 v84, 0x3f06c442, v60
	v_add_f32_e32 v64, v64, v71
	v_fmamk_f32 v71, v57, 0xbf7ba420, v74
	v_add_f32_e32 v19, v81, v19
	v_fmamk_f32 v81, v58, 0x3e3c28d5, v83
	v_fmac_f32_e32 v85, 0xbf4c4adb, v58
	v_fmac_f32_e32 v83, 0xbe3c28d5, v58
	v_add_f32_e32 v65, v71, v65
	v_fma_f32 v71, 0xbf7ba420, v57, -v74
	v_add_f32_e32 v74, v81, v75
	v_fmamk_f32 v75, v57, 0xbf59a7d5, v84
	v_mul_f32_e32 v81, 0xbf59a7d5, v59
	v_add_f32_e32 v11, v85, v11
	v_add_f32_e32 v16, v71, v16
	;; [unrolled: 1-line block ×3, first 2 shown]
	v_mul_f32_e32 v71, 0x3f763a35, v60
	v_add_f32_e32 v17, v75, v17
	v_fmamk_f32 v75, v58, 0xbf06c442, v81
	v_fma_f32 v83, 0xbf59a7d5, v57, -v84
	v_fmac_f32_e32 v81, 0x3f06c442, v58
	v_mul_f32_e32 v85, 0xbe8c1d8e, v59
	v_fmamk_f32 v84, v57, 0xbe8c1d8e, v71
	v_add_f32_e32 v75, v75, v76
	v_add_f32_e32 v68, v83, v68
	;; [unrolled: 1-line block ×3, first 2 shown]
	v_fmamk_f32 v76, v58, 0xbf763a35, v85
	v_fma_f32 v71, 0xbe8c1d8e, v57, -v71
	v_mul_f32_e32 v81, 0x3f65296c, v60
	v_mul_f32_e32 v83, 0x3ee437d1, v59
	;; [unrolled: 1-line block ×3, first 2 shown]
	v_add_f32_e32 v76, v76, v78
	v_add_f32_e32 v15, v71, v15
	v_fmamk_f32 v71, v57, 0x3ee437d1, v81
	v_fmamk_f32 v78, v58, 0xbf65296c, v83
	v_mul_f32_e32 v59, 0x3f6eb680, v59
	v_fmac_f32_e32 v85, 0x3f763a35, v58
	v_fma_f32 v81, 0x3ee437d1, v57, -v81
	v_add_f32_e32 v69, v71, v69
	v_add_f32_e32 v71, v78, v80
	v_fmamk_f32 v78, v57, 0x3f6eb680, v60
	v_fmac_f32_e32 v83, 0x3f65296c, v58
	v_fma_f32 v57, 0x3f6eb680, v57, -v60
	v_fmamk_f32 v60, v58, 0xbeb8f4ab, v59
	v_fmac_f32_e32 v59, 0x3eb8f4ab, v58
	v_mul_f32_e32 v58, 0xbf65296c, v67
	v_add_f32_e32 v13, v78, v13
	v_mul_f32_e32 v78, 0x3ee437d1, v56
	v_add_f32_e32 v36, v57, v36
	v_add_f32_e32 v37, v59, v37
	v_fmamk_f32 v80, v55, 0x3ee437d1, v58
	v_mul_f32_e32 v59, 0xbf4c4adb, v67
	v_fmamk_f32 v57, v66, 0x3f65296c, v78
	v_fma_f32 v58, 0x3ee437d1, v55, -v58
	v_fmac_f32_e32 v78, 0xbf65296c, v66
	v_add_f32_e32 v61, v80, v61
	v_mul_f32_e32 v80, 0xbf1a4643, v56
	v_add_f32_e32 v10, v57, v10
	v_fmamk_f32 v57, v55, 0xbf1a4643, v59
	v_add_f32_e32 v22, v58, v22
	v_add_f32_e32 v58, v78, v73
	v_mul_f32_e32 v73, 0x3e3c28d5, v67
	v_add_f32_e32 v12, v81, v12
	v_add_f32_e32 v26, v57, v26
	v_fmamk_f32 v57, v66, 0x3f4c4adb, v80
	v_fma_f32 v59, 0xbf1a4643, v55, -v59
	v_fmac_f32_e32 v80, 0xbf4c4adb, v66
	v_fmamk_f32 v78, v55, 0xbf7ba420, v73
	v_mul_f32_e32 v81, 0xbf7ba420, v56
	v_add_f32_e32 v57, v57, v62
	v_add_f32_e32 v27, v59, v27
	;; [unrolled: 1-line block ×4, first 2 shown]
	v_fmamk_f32 v62, v66, 0xbe3c28d5, v81
	v_mul_f32_e32 v63, 0x3f763a35, v67
	v_fma_f32 v73, 0xbf7ba420, v55, -v73
	v_mul_f32_e32 v78, 0xbe8c1d8e, v56
	v_mul_f32_e32 v80, 0x3f2c7751, v67
	v_add_f32_e32 v62, v62, v64
	v_fmamk_f32 v64, v55, 0xbe8c1d8e, v63
	v_add_f32_e32 v19, v73, v19
	v_fmamk_f32 v73, v66, 0xbf763a35, v78
	v_fmac_f32_e32 v81, 0x3e3c28d5, v66
	v_fma_f32 v63, 0xbe8c1d8e, v55, -v63
	v_add_f32_e32 v64, v64, v65
	v_fmac_f32_e32 v78, 0x3f763a35, v66
	v_add_f32_e32 v65, v73, v74
	v_fmamk_f32 v73, v55, 0x3f3d2fb0, v80
	v_mul_f32_e32 v74, 0x3f3d2fb0, v56
	v_add_f32_e32 v11, v81, v11
	v_add_f32_e32 v16, v63, v16
	;; [unrolled: 1-line block ×3, first 2 shown]
	v_mul_f32_e32 v70, 0xbeb8f4ab, v67
	v_add_f32_e32 v17, v73, v17
	v_fmamk_f32 v73, v66, 0xbf2c7751, v74
	v_fma_f32 v78, 0x3f3d2fb0, v55, -v80
	v_fmac_f32_e32 v74, 0x3f2c7751, v66
	v_mul_f32_e32 v81, 0x3f6eb680, v56
	v_fmamk_f32 v80, v55, 0x3f6eb680, v70
	v_add_f32_e32 v73, v73, v75
	v_add_f32_e32 v68, v78, v68
	;; [unrolled: 1-line block ×3, first 2 shown]
	v_fmamk_f32 v74, v66, 0x3eb8f4ab, v81
	v_fma_f32 v70, 0x3f6eb680, v55, -v70
	v_mul_f32_e32 v75, 0xbf7ee86f, v67
	v_mul_f32_e32 v78, 0x3dbcf732, v56
	v_mul_f32_e32 v67, 0xbf06c442, v67
	v_add_f32_e32 v74, v74, v76
	v_add_f32_e32 v15, v70, v15
	v_fmamk_f32 v70, v55, 0x3dbcf732, v75
	v_fmamk_f32 v76, v66, 0x3f7ee86f, v78
	v_mul_f32_e32 v56, 0xbf59a7d5, v56
	v_add_f32_e32 v60, v60, v82
	v_fmac_f32_e32 v81, 0xbeb8f4ab, v66
	v_add_f32_e32 v69, v70, v69
	v_add_f32_e32 v70, v76, v71
	v_fmamk_f32 v71, v55, 0xbf59a7d5, v67
	v_fma_f32 v75, 0x3dbcf732, v55, -v75
	v_fmac_f32_e32 v78, 0xbf7ee86f, v66
	v_fma_f32 v55, 0xbf59a7d5, v55, -v67
	v_fmamk_f32 v67, v66, 0x3f06c442, v56
	v_fmac_f32_e32 v56, 0xbf06c442, v66
	v_mul_f32_e32 v66, 0xbf7ee86f, v23
	v_add_f32_e32 v13, v71, v13
	v_mul_f32_e32 v71, 0x3dbcf732, v25
	v_add_f32_e32 v60, v67, v60
	v_add_f32_e32 v36, v55, v36
	v_fmamk_f32 v67, v20, 0x3dbcf732, v66
	v_add_f32_e32 v37, v56, v37
	v_fmamk_f32 v55, v21, 0x3f7ee86f, v71
	v_mul_f32_e32 v56, 0xbe3c28d5, v23
	v_fma_f32 v66, 0x3dbcf732, v20, -v66
	v_add_f32_e32 v61, v67, v61
	v_mul_f32_e32 v67, 0xbf7ba420, v25
	v_add_f32_e32 v10, v55, v10
	v_fmamk_f32 v55, v20, 0xbf7ba420, v56
	v_fmac_f32_e32 v71, 0xbf7ee86f, v21
	v_add_f32_e32 v22, v66, v22
	v_mul_f32_e32 v66, 0x3f763a35, v23
	v_fma_f32 v56, 0xbf7ba420, v20, -v56
	v_add_f32_e32 v26, v55, v26
	v_fmamk_f32 v55, v21, 0x3e3c28d5, v67
	v_fmac_f32_e32 v67, 0xbe3c28d5, v21
	v_mul_f32_e32 v76, 0xbe8c1d8e, v25
	v_add_f32_e32 v58, v71, v58
	v_fmamk_f32 v71, v20, 0xbe8c1d8e, v66
	v_add_f32_e32 v55, v55, v57
	v_add_f32_e32 v27, v56, v27
	;; [unrolled: 1-line block ×3, first 2 shown]
	v_fmamk_f32 v57, v21, 0xbf763a35, v76
	v_mul_f32_e32 v59, 0x3eb8f4ab, v23
	v_fma_f32 v66, 0xbe8c1d8e, v20, -v66
	v_mul_f32_e32 v67, 0x3f6eb680, v25
	v_add_f32_e32 v18, v71, v18
	v_add_f32_e32 v57, v57, v62
	v_fmamk_f32 v62, v20, 0x3f6eb680, v59
	v_add_f32_e32 v19, v66, v19
	v_fmamk_f32 v66, v21, 0xbeb8f4ab, v67
	v_mul_f32_e32 v71, 0xbf65296c, v23
	v_fma_f32 v59, 0x3f6eb680, v20, -v59
	v_fmac_f32_e32 v67, 0x3eb8f4ab, v21
	v_add_f32_e32 v14, v84, v14
	v_add_f32_e32 v62, v62, v64
	;; [unrolled: 1-line block ×3, first 2 shown]
	v_fmamk_f32 v65, v20, 0x3ee437d1, v71
	v_mul_f32_e32 v66, 0x3ee437d1, v25
	v_add_f32_e32 v16, v59, v16
	v_add_f32_e32 v59, v67, v63
	v_mul_f32_e32 v63, 0xbf06c442, v23
	v_add_f32_e32 v14, v80, v14
	v_add_f32_e32 v17, v65, v17
	v_fmamk_f32 v65, v21, 0x3f65296c, v66
	v_fma_f32 v67, 0x3ee437d1, v20, -v71
	v_fmac_f32_e32 v66, 0xbf65296c, v21
	v_fmamk_f32 v71, v20, 0xbf59a7d5, v63
	v_fma_f32 v63, 0xbf59a7d5, v20, -v63
	v_fmac_f32_e32 v76, 0x3f763a35, v21
	v_add_f32_e32 v65, v65, v73
	v_add_f32_e32 v66, v66, v72
	;; [unrolled: 1-line block ×3, first 2 shown]
	v_mul_f32_e32 v71, 0x3f4c4adb, v23
	v_mul_f32_e32 v72, 0xbf1a4643, v25
	v_add_f32_e32 v15, v63, v15
	v_mul_f32_e32 v23, 0x3f2c7751, v23
	v_add_f32_e32 v11, v76, v11
	v_fmamk_f32 v63, v20, 0xbf1a4643, v71
	v_fmamk_f32 v73, v21, 0xbf4c4adb, v72
	v_mul_f32_e32 v76, 0xbf59a7d5, v25
	v_mul_f32_e32 v25, 0x3f3d2fb0, v25
	v_add_f32_e32 v67, v67, v68
	v_add_f32_e32 v63, v63, v69
	;; [unrolled: 1-line block ×3, first 2 shown]
	v_fmamk_f32 v70, v20, 0x3f3d2fb0, v23
	v_fmamk_f32 v68, v21, 0x3f06c442, v76
	v_fmac_f32_e32 v76, 0xbf06c442, v21
	v_fma_f32 v71, 0xbf1a4643, v20, -v71
	v_fmac_f32_e32 v72, 0x3f4c4adb, v21
	v_fma_f32 v20, 0x3f3d2fb0, v20, -v23
	v_fmamk_f32 v23, v21, 0xbf2c7751, v25
	v_fmac_f32_e32 v25, 0x3f2c7751, v21
	v_mul_f32_e32 v21, 0xbf763a35, v54
	v_add_f32_e32 v13, v70, v13
	v_mul_f32_e32 v70, 0xbe8c1d8e, v53
	v_add_f32_e32 v79, v83, v79
	v_add_f32_e32 v23, v23, v60
	v_fmamk_f32 v60, v51, 0xbe8c1d8e, v21
	v_add_f32_e32 v20, v20, v36
	v_add_f32_e32 v25, v25, v37
	v_fmamk_f32 v36, v52, 0x3f763a35, v70
	v_mul_f32_e32 v37, 0x3f06c442, v54
	v_add_f32_e32 v12, v75, v12
	v_add_f32_e32 v75, v78, v79
	;; [unrolled: 1-line block ×3, first 2 shown]
	v_fma_f32 v21, 0xbe8c1d8e, v51, -v21
	v_fmac_f32_e32 v70, 0xbf763a35, v52
	v_add_f32_e32 v10, v36, v10
	v_fmamk_f32 v36, v51, 0xbf59a7d5, v37
	v_mul_f32_e32 v61, 0xbf59a7d5, v53
	v_add_f32_e32 v12, v71, v12
	v_add_f32_e32 v71, v72, v75
	;; [unrolled: 1-line block ×4, first 2 shown]
	v_mul_f32_e32 v58, 0x3f2c7751, v54
	v_add_f32_e32 v26, v36, v26
	v_fmamk_f32 v36, v52, 0xbf06c442, v61
	v_fma_f32 v37, 0xbf59a7d5, v51, -v37
	v_fmac_f32_e32 v61, 0x3f06c442, v52
	v_mul_f32_e32 v72, 0x3f3d2fb0, v53
	v_fmamk_f32 v70, v51, 0x3f3d2fb0, v58
	v_add_f32_e32 v36, v36, v55
	v_add_f32_e32 v27, v37, v27
	;; [unrolled: 1-line block ×3, first 2 shown]
	v_fmamk_f32 v55, v52, 0xbf2c7751, v72
	v_mul_f32_e32 v56, 0xbf65296c, v54
	v_fma_f32 v58, 0x3f3d2fb0, v51, -v58
	v_mul_f32_e32 v61, 0x3ee437d1, v53
	v_add_f32_e32 v18, v70, v18
	v_add_f32_e32 v55, v55, v57
	v_fmamk_f32 v57, v51, 0x3ee437d1, v56
	v_add_f32_e32 v19, v58, v19
	v_fmamk_f32 v58, v52, 0x3f65296c, v61
	v_mul_f32_e32 v70, 0xbe3c28d5, v54
	v_fmac_f32_e32 v72, 0x3f2c7751, v52
	v_add_f32_e32 v57, v57, v62
	v_fma_f32 v56, 0x3ee437d1, v51, -v56
	v_fmac_f32_e32 v61, 0xbf65296c, v52
	v_add_f32_e32 v58, v58, v64
	v_fmamk_f32 v62, v51, 0xbf7ba420, v70
	v_mul_f32_e32 v64, 0xbf7ba420, v53
	v_add_f32_e32 v11, v72, v11
	v_add_f32_e32 v16, v56, v16
	;; [unrolled: 1-line block ×3, first 2 shown]
	v_mul_f32_e32 v59, 0x3f7ee86f, v54
	v_add_f32_e32 v17, v62, v17
	v_fmamk_f32 v61, v52, 0x3e3c28d5, v64
	v_fma_f32 v62, 0xbf7ba420, v51, -v70
	v_fmac_f32_e32 v64, 0xbe3c28d5, v52
	v_mul_f32_e32 v72, 0x3dbcf732, v53
	v_add_f32_e32 v68, v68, v74
	v_fmamk_f32 v70, v51, 0x3dbcf732, v59
	v_add_f32_e32 v61, v61, v65
	v_add_f32_e32 v62, v62, v67
	;; [unrolled: 1-line block ×3, first 2 shown]
	v_fmamk_f32 v65, v52, 0xbf7ee86f, v72
	v_mul_f32_e32 v66, 0xbeb8f4ab, v54
	v_mul_f32_e32 v67, 0x3f6eb680, v53
	v_add_f32_e32 v14, v70, v14
	v_mul_f32_e32 v54, 0xbf4c4adb, v54
	v_add_f32_e32 v65, v65, v68
	v_fmamk_f32 v68, v51, 0x3f6eb680, v66
	v_fmamk_f32 v70, v52, 0x3eb8f4ab, v67
	v_fma_f32 v66, 0x3f6eb680, v51, -v66
	v_fmac_f32_e32 v67, 0xbeb8f4ab, v52
	v_mul_f32_e32 v53, 0xbf1a4643, v53
	v_add_f32_e32 v63, v68, v63
	v_add_f32_e32 v68, v70, v69
	v_fmamk_f32 v69, v51, 0xbf1a4643, v54
	v_add_f32_e32 v12, v66, v12
	v_add_f32_e32 v66, v67, v71
	v_mul_f32_e32 v67, 0xbf4c4adb, v24
	v_fma_f32 v59, 0x3dbcf732, v51, -v59
	v_fmac_f32_e32 v72, 0x3f7ee86f, v52
	v_add_f32_e32 v13, v69, v13
	v_fmamk_f32 v69, v52, 0x3f4c4adb, v53
	v_fma_f32 v51, 0xbf1a4643, v51, -v54
	v_fmac_f32_e32 v53, 0xbf4c4adb, v52
	v_fmamk_f32 v52, v39, 0xbf1a4643, v67
	v_mul_f32_e32 v54, 0xbf1a4643, v50
	v_add_f32_e32 v23, v69, v23
	v_add_f32_e32 v20, v51, v20
	;; [unrolled: 1-line block ×4, first 2 shown]
	v_fmamk_f32 v52, v38, 0x3f4c4adb, v54
	v_mul_f32_e32 v53, 0x3f763a35, v24
	v_fma_f32 v60, 0xbf1a4643, v39, -v67
	v_fmac_f32_e32 v54, 0xbf4c4adb, v38
	v_mul_f32_e32 v67, 0xbe8c1d8e, v50
	v_add_f32_e32 v10, v52, v10
	v_fmamk_f32 v52, v39, 0xbe8c1d8e, v53
	v_add_f32_e32 v21, v60, v21
	v_add_f32_e32 v22, v54, v22
	v_fmamk_f32 v54, v38, 0xbf763a35, v67
	v_mul_f32_e32 v60, 0xbeb8f4ab, v24
	v_add_f32_e32 v26, v52, v26
	v_fma_f32 v52, 0xbe8c1d8e, v39, -v53
	v_fmac_f32_e32 v67, 0x3f763a35, v38
	v_add_f32_e32 v36, v54, v36
	v_fmamk_f32 v53, v39, 0x3f6eb680, v60
	v_mul_f32_e32 v54, 0x3f6eb680, v50
	v_add_f32_e32 v27, v52, v27
	v_mul_f32_e32 v52, 0xbf06c442, v24
	v_add_f32_e32 v37, v67, v37
	v_add_f32_e32 v18, v53, v18
	v_fmamk_f32 v53, v38, 0x3eb8f4ab, v54
	v_fma_f32 v60, 0x3f6eb680, v39, -v60
	v_fmac_f32_e32 v54, 0xbeb8f4ab, v38
	v_fmamk_f32 v67, v39, 0xbf59a7d5, v52
	v_mul_f32_e32 v69, 0xbf59a7d5, v50
	v_add_f32_e32 v77, v85, v77
	v_add_f32_e32 v53, v53, v55
	;; [unrolled: 1-line block ×5, first 2 shown]
	v_fmamk_f32 v55, v38, 0x3f06c442, v69
	v_mul_f32_e32 v57, 0x3f7ee86f, v24
	v_fma_f32 v52, 0xbf59a7d5, v39, -v52
	v_fmac_f32_e32 v69, 0xbf06c442, v38
	v_mul_f32_e32 v60, 0x3dbcf732, v50
	v_add_f32_e32 v77, v81, v77
	v_add_f32_e32 v55, v55, v58
	v_fmamk_f32 v58, v39, 0x3dbcf732, v57
	v_add_f32_e32 v16, v52, v16
	v_add_f32_e32 v52, v69, v56
	v_fmamk_f32 v56, v38, 0xbf7ee86f, v60
	v_mul_f32_e32 v67, 0xbf2c7751, v24
	v_fma_f32 v57, 0x3dbcf732, v39, -v57
	v_add_f32_e32 v74, v76, v77
	v_add_f32_e32 v17, v58, v17
	v_fmac_f32_e32 v60, 0x3f7ee86f, v38
	v_add_f32_e32 v56, v56, v61
	v_fmamk_f32 v58, v39, 0x3f3d2fb0, v67
	v_mul_f32_e32 v61, 0x3f3d2fb0, v50
	v_add_f32_e32 v57, v57, v62
	v_mul_f32_e32 v62, 0xbe3c28d5, v24
	v_add_f32_e32 v15, v59, v15
	v_add_f32_e32 v59, v72, v74
	;; [unrolled: 1-line block ×4, first 2 shown]
	v_fmamk_f32 v58, v38, 0x3f2c7751, v61
	v_fma_f32 v64, 0x3f3d2fb0, v39, -v67
	v_fmac_f32_e32 v61, 0xbf2c7751, v38
	v_fmamk_f32 v67, v39, 0xbf7ba420, v62
	v_mul_f32_e32 v69, 0xbf7ba420, v50
	v_add_f32_e32 v58, v58, v65
	v_mul_f32_e32 v24, 0x3f65296c, v24
	v_add_f32_e32 v59, v61, v59
	v_add_f32_e32 v61, v67, v63
	v_fmamk_f32 v63, v38, 0x3e3c28d5, v69
	v_fmac_f32_e32 v69, 0xbe3c28d5, v38
	v_fma_f32 v62, 0xbf7ba420, v39, -v62
	v_mul_f32_e32 v50, 0x3ee437d1, v50
	v_add_f32_e32 v15, v64, v15
	v_fmamk_f32 v64, v39, 0x3ee437d1, v24
	v_add_f32_e32 v65, v69, v66
	v_sub_f32_e32 v66, v1, v7
	v_add_f32_e32 v1, v7, v1
	v_add_f32_e32 v12, v62, v12
	v_fmamk_f32 v62, v38, 0xbf65296c, v50
	v_fma_f32 v24, 0x3ee437d1, v39, -v24
	v_add_f32_e32 v7, v6, v0
	v_mul_f32_e32 v39, 0xbf06c442, v66
	v_fmac_f32_e32 v50, 0x3f65296c, v38
	v_sub_f32_e32 v0, v0, v6
	v_mul_f32_e32 v6, 0xbf59a7d5, v1
	v_add_f32_e32 v20, v24, v20
	v_fmamk_f32 v38, v7, 0xbf59a7d5, v39
	v_add_f32_e32 v24, v50, v25
	v_mul_f32_e32 v50, 0x3f65296c, v66
	v_fmamk_f32 v25, v0, 0x3f06c442, v6
	v_fmac_f32_e32 v6, 0xbf06c442, v0
	v_add_f32_e32 v38, v38, v51
	v_fma_f32 v39, 0xbf59a7d5, v7, -v39
	v_mul_f32_e32 v51, 0x3ee437d1, v1
	v_add_f32_e32 v10, v25, v10
	v_fmamk_f32 v25, v7, 0x3ee437d1, v50
	v_add_f32_e32 v6, v6, v22
	v_mul_f32_e32 v22, 0xbf7ee86f, v66
	v_add_f32_e32 v23, v62, v23
	v_add_f32_e32 v21, v39, v21
	v_add_f32_e32 v25, v25, v26
	v_fmamk_f32 v26, v0, 0xbf65296c, v51
	v_fma_f32 v39, 0x3ee437d1, v7, -v50
	v_fmac_f32_e32 v51, 0x3f65296c, v0
	v_fmamk_f32 v50, v7, 0x3dbcf732, v22
	v_mul_f32_e32 v62, 0x3dbcf732, v1
	v_add_f32_e32 v26, v26, v36
	v_add_f32_e32 v27, v39, v27
	;; [unrolled: 1-line block ×4, first 2 shown]
	v_fmamk_f32 v37, v0, 0x3f7ee86f, v62
	v_mul_f32_e32 v39, 0x3f4c4adb, v66
	v_fma_f32 v22, 0x3dbcf732, v7, -v22
	v_mul_f32_e32 v50, 0xbf1a4643, v1
	v_fmac_f32_e32 v62, 0xbf7ee86f, v0
	v_add_f32_e32 v37, v37, v53
	v_fmamk_f32 v51, v7, 0xbf1a4643, v39
	v_add_f32_e32 v19, v22, v19
	v_fmamk_f32 v22, v0, 0xbf4c4adb, v50
	v_mul_f32_e32 v53, 0xbeb8f4ab, v66
	v_fma_f32 v39, 0xbf1a4643, v7, -v39
	v_add_f32_e32 v51, v51, v54
	v_fmac_f32_e32 v50, 0x3f4c4adb, v0
	v_add_f32_e32 v22, v22, v55
	v_fmamk_f32 v54, v7, 0x3f6eb680, v53
	v_mul_f32_e32 v55, 0x3f6eb680, v1
	v_add_f32_e32 v16, v39, v16
	v_mul_f32_e32 v39, 0xbe3c28d5, v66
	v_add_f32_e32 v11, v62, v11
	v_add_f32_e32 v50, v50, v52
	;; [unrolled: 1-line block ×3, first 2 shown]
	v_fmamk_f32 v52, v0, 0x3eb8f4ab, v55
	v_fmamk_f32 v54, v7, 0xbf7ba420, v39
	v_mul_f32_e32 v62, 0xbf7ba420, v1
	v_fma_f32 v53, 0x3f6eb680, v7, -v53
	v_fmac_f32_e32 v55, 0xbeb8f4ab, v0
	v_add_f32_e32 v52, v52, v56
	v_add_f32_e32 v54, v54, v14
	v_fmamk_f32 v14, v0, 0x3e3c28d5, v62
	v_mul_f32_e32 v56, 0x3f2c7751, v66
	v_add_f32_e32 v53, v53, v57
	v_fma_f32 v39, 0xbf7ba420, v7, -v39
	v_mul_f32_e32 v57, 0x3f3d2fb0, v1
	v_add_f32_e32 v58, v14, v58
	v_fmamk_f32 v14, v7, 0x3f3d2fb0, v56
	v_add_f32_e32 v63, v63, v68
	v_add_f32_e32 v55, v55, v60
	v_fmac_f32_e32 v62, 0xbe3c28d5, v0
	v_add_f32_e32 v60, v39, v15
	v_fmamk_f32 v15, v0, 0xbf2c7751, v57
	v_mul_f32_e32 v39, 0xbf763a35, v66
	v_add_f32_e32 v61, v14, v61
	v_fma_f32 v14, 0x3f3d2fb0, v7, -v56
	v_fmac_f32_e32 v57, 0x3f2c7751, v0
	v_mul_f32_e32 v1, 0xbe8c1d8e, v1
	v_add_f32_e32 v66, v5, v3
	v_add_f32_e32 v13, v64, v13
	;; [unrolled: 1-line block ×4, first 2 shown]
	v_fmamk_f32 v15, v7, 0xbe8c1d8e, v39
	v_add_f32_e32 v62, v14, v12
	v_sub_f32_e32 v63, v3, v5
	v_add_f32_e32 v57, v57, v65
	v_fmamk_f32 v12, v0, 0x3f763a35, v1
	v_add_f32_e32 v65, v4, v2
	v_fma_f32 v3, 0xbe8c1d8e, v7, -v39
	v_fmac_f32_e32 v1, 0xbf763a35, v0
	v_sub_f32_e32 v67, v2, v4
	v_mul_f32_e32 v2, 0xbf7ba420, v66
	v_add_f32_e32 v64, v15, v13
	v_mul_f32_e32 v13, 0xbe3c28d5, v63
	v_add_f32_e32 v69, v3, v20
	v_add_f32_e32 v70, v1, v24
	v_fmamk_f32 v1, v67, 0x3e3c28d5, v2
	v_mul_f32_e32 v3, 0x3eb8f4ab, v63
	v_fmamk_f32 v0, v65, 0xbf7ba420, v13
	v_fma_f32 v4, 0xbf7ba420, v65, -v13
	v_fmac_f32_e32 v2, 0xbe3c28d5, v67
	v_mul_f32_e32 v5, 0x3f6eb680, v66
	v_add_f32_e32 v1, v1, v10
	v_fmamk_f32 v7, v65, 0x3f6eb680, v3
	v_mul_f32_e32 v10, 0xbf06c442, v63
	v_add_f32_e32 v68, v12, v23
	v_add_f32_e32 v0, v0, v38
	;; [unrolled: 1-line block ×4, first 2 shown]
	v_fmamk_f32 v4, v67, 0xbeb8f4ab, v5
	v_add_f32_e32 v2, v7, v25
	v_fma_f32 v6, 0x3f6eb680, v65, -v3
	v_fmamk_f32 v7, v65, 0xbf59a7d5, v10
	v_mul_f32_e32 v12, 0xbf59a7d5, v66
	v_mul_f32_e32 v13, 0x3f2c7751, v63
	v_add_f32_e32 v3, v4, v26
	v_add_f32_e32 v4, v6, v27
	;; [unrolled: 1-line block ×3, first 2 shown]
	v_fmamk_f32 v7, v67, 0x3f06c442, v12
	v_fmac_f32_e32 v12, 0xbf06c442, v67
	v_fmamk_f32 v14, v65, 0x3f3d2fb0, v13
	v_mul_f32_e32 v15, 0x3f3d2fb0, v66
	v_fma_f32 v10, 0xbf59a7d5, v65, -v10
	v_mul_f32_e32 v18, 0xbf4c4adb, v63
	v_add_f32_e32 v11, v12, v11
	v_add_f32_e32 v12, v14, v51
	v_fmamk_f32 v14, v67, 0xbf2c7751, v15
	v_add_f32_e32 v10, v10, v19
	v_fma_f32 v19, 0x3f3d2fb0, v65, -v13
	v_mul_f32_e32 v20, 0xbf1a4643, v66
	v_fmamk_f32 v21, v65, 0xbf1a4643, v18
	v_add_f32_e32 v13, v14, v22
	v_mul_f32_e32 v22, 0x3f65296c, v63
	v_fmac_f32_e32 v5, 0x3eb8f4ab, v67
	v_mul_f32_e32 v25, 0xbf763a35, v63
	v_mul_f32_e32 v27, 0xbe8c1d8e, v66
	v_add_f32_e32 v7, v7, v37
	v_fmac_f32_e32 v15, 0x3f2c7751, v67
	v_add_f32_e32 v14, v19, v16
	v_fmamk_f32 v19, v67, 0x3f4c4adb, v20
	v_fma_f32 v18, 0xbf1a4643, v65, -v18
	v_mul_f32_e32 v37, 0x3f7ee86f, v63
	v_mul_f32_e32 v51, 0x3dbcf732, v66
	v_add_f32_e32 v16, v21, v17
	v_fmac_f32_e32 v20, 0xbf4c4adb, v67
	v_fmamk_f32 v21, v65, 0x3ee437d1, v22
	v_mul_f32_e32 v23, 0x3ee437d1, v66
	v_add_f32_e32 v5, v5, v36
	v_fmamk_f32 v26, v67, 0x3f763a35, v27
	v_fma_f32 v36, 0xbe8c1d8e, v65, -v25
	v_add_f32_e32 v15, v15, v50
	v_add_f32_e32 v17, v19, v52
	;; [unrolled: 1-line block ×3, first 2 shown]
	v_fmamk_f32 v50, v67, 0xbf7ee86f, v51
	v_fma_f32 v52, 0x3dbcf732, v65, -v37
	v_mul_u32_u24_e32 v53, 0x88, v28
	v_add_f32_e32 v19, v20, v55
	v_add_f32_e32 v20, v21, v54
	v_fmamk_f32 v21, v67, 0xbf65296c, v23
	v_fmamk_f32 v24, v65, 0xbe8c1d8e, v25
	v_fma_f32 v22, 0x3ee437d1, v65, -v22
	v_fmac_f32_e32 v23, 0x3f65296c, v67
	v_fmac_f32_e32 v27, 0xbf763a35, v67
	v_add_f32_e32 v25, v26, v56
	v_add_f32_e32 v26, v36, v62
	v_fmamk_f32 v36, v65, 0x3dbcf732, v37
	v_fmac_f32_e32 v51, 0x3f7ee86f, v67
	v_add_f32_e32 v37, v50, v68
	v_add_f32_e32 v50, v52, v69
	v_add3_u32 v52, 0, v53, v44
	v_add_f32_e32 v21, v21, v58
	v_add_f32_e32 v24, v24, v61
	;; [unrolled: 1-line block ×7, first 2 shown]
	ds_write2_b64 v52, v[8:9], v[0:1] offset1:1
	ds_write2_b64 v52, v[2:3], v[6:7] offset0:2 offset1:3
	ds_write2_b64 v52, v[12:13], v[16:17] offset0:4 offset1:5
	;; [unrolled: 1-line block ×7, first 2 shown]
	ds_write_b64 v52, v[38:39] offset:128
	s_waitcnt lgkmcnt(0)
	s_barrier
	buffer_gl0_inv
	ds_read2_b64 v[4:7], v49 offset0:92 offset1:194
	ds_read2_b64 v[0:3], v29 offset0:68 offset1:136
	;; [unrolled: 1-line block ×7, first 2 shown]
	ds_read_b64 v[36:37], v45
	ds_read_b64 v[42:43], v29 offset:8432
                                        ; implicit-def: $vgpr41
	s_and_saveexec_b32 s1, s0
	s_cbranch_execz .LBB0_20
; %bb.19:
	ds_read_b64 v[38:39], v29 offset:4352
	ds_read_b64 v[40:41], v29 offset:8976
.LBB0_20:
	s_or_b32 exec_lo, exec_lo, s1
	v_and_b32_e32 v49, 0xff, v28
	v_add_nc_u16 v53, v28, 0x44
	v_add_nc_u16 v54, v28, 0x88
	v_add_nc_u32_e32 v51, 0xcc, v28
	v_add_nc_u32_e32 v52, 0x110, v28
	v_mul_lo_u16 v49, 0xf1, v49
	v_and_b32_e32 v50, 0xff, v53
	v_and_b32_e32 v57, 0xff, v54
	v_mov_b32_e32 v61, 0xf0f1
	v_add_nc_u32_e32 v55, 0x154, v28
	v_lshrrev_b16 v71, 12, v49
	v_mul_lo_u16 v59, 0xf1, v50
	v_mul_lo_u16 v57, 0xf1, v57
	v_add_nc_u32_e32 v56, 0x198, v28
	v_add_nc_u32_e32 v58, 0x1dc, v28
	v_mul_lo_u16 v60, v71, 17
	v_mov_b32_e32 v50, 3
	v_lshrrev_b16 v72, 12, v59
	v_lshrrev_b16 v73, 12, v57
	v_mul_u32_u24_sdwa v59, v51, v61 dst_sel:DWORD dst_unused:UNUSED_PAD src0_sel:WORD_0 src1_sel:DWORD
	v_sub_nc_u16 v57, v28, v60
	v_mul_u32_u24_sdwa v60, v52, v61 dst_sel:DWORD dst_unused:UNUSED_PAD src0_sel:WORD_0 src1_sel:DWORD
	v_add_nc_u32_e32 v49, 0x220, v28
	v_mul_lo_u16 v62, v72, 17
	v_lshrrev_b32_e32 v75, 20, v59
	v_lshlrev_b32_sdwa v74, v50, v57 dst_sel:DWORD dst_unused:UNUSED_PAD src0_sel:DWORD src1_sel:BYTE_0
	v_mul_u32_u24_sdwa v57, v55, v61 dst_sel:DWORD dst_unused:UNUSED_PAD src0_sel:WORD_0 src1_sel:DWORD
	v_mul_u32_u24_sdwa v59, v56, v61 dst_sel:DWORD dst_unused:UNUSED_PAD src0_sel:WORD_0 src1_sel:DWORD
	v_lshrrev_b32_e32 v76, 20, v60
	v_mul_u32_u24_sdwa v60, v58, v61 dst_sel:DWORD dst_unused:UNUSED_PAD src0_sel:WORD_0 src1_sel:DWORD
	v_mul_lo_u16 v63, v73, 17
	v_lshrrev_b32_e32 v77, 20, v57
	v_mul_lo_u16 v57, v75, 17
	v_lshrrev_b32_e32 v78, 20, v59
	;; [unrolled: 2-line block ×3, first 2 shown]
	v_mul_lo_u16 v60, v77, 17
	v_sub_nc_u16 v64, v51, v57
	v_mul_lo_u16 v51, v78, 17
	v_sub_nc_u16 v52, v52, v59
	v_mul_lo_u16 v57, v79, 17
	v_mul_u32_u24_sdwa v59, v49, v61 dst_sel:DWORD dst_unused:UNUSED_PAD src0_sel:WORD_0 src1_sel:DWORD
	v_sub_nc_u16 v55, v55, v60
	v_sub_nc_u16 v56, v56, v51
	v_lshlrev_b32_sdwa v80, v50, v52 dst_sel:DWORD dst_unused:UNUSED_PAD src0_sel:DWORD src1_sel:WORD_0
	v_sub_nc_u16 v52, v58, v57
	v_lshrrev_b32_e32 v51, 20, v59
	v_sub_nc_u16 v62, v53, v62
	v_sub_nc_u16 v63, v54, v63
	v_lshlrev_b32_sdwa v81, v50, v55 dst_sel:DWORD dst_unused:UNUSED_PAD src0_sel:DWORD src1_sel:WORD_0
	v_lshlrev_b32_sdwa v83, v50, v52 dst_sel:DWORD dst_unused:UNUSED_PAD src0_sel:DWORD src1_sel:WORD_0
	v_mul_lo_u16 v52, v51, 17
	v_lshlrev_b32_sdwa v82, v50, v56 dst_sel:DWORD dst_unused:UNUSED_PAD src0_sel:DWORD src1_sel:WORD_0
	s_clause 0x2
	global_load_dwordx2 v[53:54], v74, s[8:9]
	global_load_dwordx2 v[55:56], v80, s[8:9]
	;; [unrolled: 1-line block ×3, first 2 shown]
	v_sub_nc_u16 v52, v49, v52
	global_load_dwordx2 v[59:60], v82, s[8:9]
	v_lshlrev_b32_sdwa v84, v50, v62 dst_sel:DWORD dst_unused:UNUSED_PAD src0_sel:DWORD src1_sel:BYTE_0
	v_lshlrev_b32_sdwa v85, v50, v63 dst_sel:DWORD dst_unused:UNUSED_PAD src0_sel:DWORD src1_sel:BYTE_0
	v_lshlrev_b32_sdwa v86, v50, v64 dst_sel:DWORD dst_unused:UNUSED_PAD src0_sel:DWORD src1_sel:WORD_0
	v_and_b32_e32 v52, 0xffff, v52
	s_clause 0x3
	global_load_dwordx2 v[61:62], v83, s[8:9]
	global_load_dwordx2 v[63:64], v84, s[8:9]
	;; [unrolled: 1-line block ×4, first 2 shown]
	v_and_b32_e32 v71, 0xffff, v71
	v_mad_u32_u24 v75, 0x110, v75, 0
	v_lshlrev_b32_e32 v69, 3, v52
	v_mad_u32_u24 v76, 0x110, v76, 0
	v_mad_u32_u24 v77, 0x110, v77, 0
	;; [unrolled: 1-line block ×4, first 2 shown]
	global_load_dwordx2 v[69:70], v69, s[8:9]
	v_mad_u32_u24 v79, 0x110, v79, 0
	v_and_b32_e32 v72, 0xffff, v72
	v_add3_u32 v71, v71, v74, v44
	v_add3_u32 v74, v75, v86, v44
	;; [unrolled: 1-line block ×6, first 2 shown]
	v_and_b32_e32 v73, 0xffff, v73
	v_mad_u32_u24 v72, 0x110, v72, 0
	s_waitcnt vmcnt(0) lgkmcnt(0)
	s_barrier
	buffer_gl0_inv
	v_mad_u32_u24 v73, 0x110, v73, 0
	v_add3_u32 v72, v72, v84, v44
	v_add3_u32 v73, v73, v85, v44
	v_mul_f32_e32 v79, v54, v7
	v_mul_f32_e32 v54, v54, v6
	;; [unrolled: 1-line block ×7, first 2 shown]
	v_fmac_f32_e32 v79, v53, v6
	v_fma_f32 v7, v53, v7, -v54
	v_mul_f32_e32 v53, v64, v17
	v_mul_f32_e32 v6, v64, v16
	;; [unrolled: 1-line block ×9, first 2 shown]
	v_fmac_f32_e32 v80, v55, v22
	v_fma_f32 v22, v55, v23, -v56
	v_fmac_f32_e32 v82, v59, v26
	v_mul_f32_e32 v55, v41, v70
	v_mul_f32_e32 v26, v40, v70
	v_fmac_f32_e32 v81, v57, v24
	v_fma_f32 v24, v59, v27, -v60
	v_fmac_f32_e32 v53, v63, v16
	v_fma_f32 v27, v63, v17, -v6
	v_fmac_f32_e32 v83, v42, v61
	v_fmac_f32_e32 v54, v65, v18
	v_fma_f32 v42, v65, v19, -v64
	v_fma_f32 v23, v57, v25, -v58
	;; [unrolled: 1-line block ×3, first 2 shown]
	v_fmac_f32_e32 v66, v67, v20
	v_fma_f32 v43, v67, v21, -v68
	v_fmac_f32_e32 v55, v40, v69
	v_fma_f32 v56, v41, v69, -v26
	v_sub_f32_e32 v6, v36, v79
	v_sub_f32_e32 v7, v37, v7
	;; [unrolled: 1-line block ×16, first 2 shown]
	v_fma_f32 v24, v36, 2.0, -v6
	v_fma_f32 v25, v37, 2.0, -v7
	v_sub_f32_e32 v36, v38, v55
	v_sub_f32_e32 v37, v39, v56
	v_fma_f32 v0, v0, 2.0, -v26
	v_fma_f32 v1, v1, 2.0, -v27
	;; [unrolled: 1-line block ×14, first 2 shown]
	ds_write2_b64 v71, v[24:25], v[6:7] offset1:17
	ds_write2_b64 v72, v[0:1], v[26:27] offset1:17
	;; [unrolled: 1-line block ×8, first 2 shown]
	s_and_saveexec_b32 s1, s0
	s_cbranch_execz .LBB0_22
; %bb.21:
	v_mul_lo_u16 v0, v51, 34
	v_lshl_add_u32 v2, v52, 3, 0
	v_fma_f32 v1, v39, 2.0, -v37
	v_lshlrev_b32_sdwa v3, v50, v0 dst_sel:DWORD dst_unused:UNUSED_PAD src0_sel:DWORD src1_sel:WORD_0
	v_fma_f32 v0, v38, 2.0, -v36
	v_add3_u32 v2, v2, v3, v44
	ds_write2_b64 v2, v[0:1], v[36:37] offset1:17
.LBB0_22:
	s_or_b32 exec_lo, exec_lo, s1
	v_subrev_nc_u32_e32 v38, 34, v28
	v_mov_b32_e32 v1, 0
	s_waitcnt lgkmcnt(0)
	s_barrier
	buffer_gl0_inv
	v_cndmask_b32_e64 v2, v38, v28, s0
	v_add_nc_u32_e32 v8, 0x400, v29
	v_add_nc_u32_e32 v39, 0x800, v29
	;; [unrolled: 1-line block ×4, first 2 shown]
	v_lshlrev_b32_e32 v0, 4, v2
	v_add_nc_u32_e32 v4, 0x1400, v29
	v_add_nc_u32_e32 v24, 0x1800, v29
	;; [unrolled: 1-line block ×3, first 2 shown]
	v_lshlrev_b32_e32 v2, 3, v2
	v_lshlrev_b64 v[0:1], 3, v[0:1]
	v_add_co_u32 v0, s1, s8, v0
	v_add_co_ci_u32_e64 v1, s1, s9, v1, s1
	v_cmp_lt_u32_e64 s1, 33, v28
	s_clause 0x7
	global_load_dwordx4 v[40:43], v[0:1], off offset:136
	global_load_dwordx4 v[51:54], v[0:1], off offset:152
	;; [unrolled: 1-line block ×8, first 2 shown]
	ds_read2_b64 v[80:83], v29 offset0:68 offset1:136
	ds_read2_b64 v[84:87], v8 offset0:76 offset1:144
	;; [unrolled: 1-line block ×4, first 2 shown]
	ds_read_b64 v[0:1], v45
	ds_read2_b64 v[96:99], v9 offset0:100 offset1:168
	ds_read2_b64 v[100:103], v4 offset0:108 offset1:176
	;; [unrolled: 1-line block ×4, first 2 shown]
	s_waitcnt vmcnt(0) lgkmcnt(0)
	s_barrier
	buffer_gl0_inv
	v_mul_f32_e32 v112, v41, v81
	v_mul_f32_e32 v6, v41, v80
	;; [unrolled: 1-line block ×6, first 2 shown]
	v_fmac_f32_e32 v112, v40, v80
	v_mul_f32_e32 v25, v109, v77
	v_mul_f32_e32 v7, v43, v82
	;; [unrolled: 1-line block ×17, first 2 shown]
	v_fma_f32 v71, v40, v81, -v6
	v_fmac_f32_e32 v55, v42, v82
	v_fma_f32 v20, v89, v56, -v16
	v_fmac_f32_e32 v14, v90, v58
	;; [unrolled: 2-line block ×3, first 2 shown]
	v_add_f32_e32 v58, v112, v0
	v_mul_f32_e32 v12, v52, v84
	v_mul_f32_e32 v5, v97, v65
	;; [unrolled: 1-line block ×7, first 2 shown]
	v_fma_f32 v57, v42, v83, -v7
	v_fmac_f32_e32 v50, v51, v84
	v_fmac_f32_e32 v18, v88, v56
	;; [unrolled: 1-line block ×3, first 2 shown]
	v_fma_f32 v6, v95, v62, -v27
	v_fma_f32 v17, v101, v68, -v59
	v_fmac_f32_e32 v23, v106, v74
	v_fma_f32 v40, v109, v76, -v67
	v_add_f32_e32 v59, v71, v1
	v_add_f32_e32 v56, v55, v25
	v_sub_f32_e32 v62, v55, v25
	v_add_f32_e32 v55, v58, v55
	v_mul_f32_e32 v69, v110, v79
	v_fma_f32 v52, v51, v85, -v12
	v_fmac_f32_e32 v43, v86, v53
	v_fmac_f32_e32 v5, v96, v64
	v_fma_f32 v7, v97, v64, -v41
	v_fmac_f32_e32 v15, v100, v68
	v_fmac_f32_e32 v22, v104, v72
	v_fma_f32 v42, v105, v72, -v63
	v_fma_f32 v41, v107, v74, -v65
	v_sub_f32_e32 v63, v57, v40
	v_add_f32_e32 v68, v57, v40
	v_add_f32_e32 v64, v50, v23
	v_sub_f32_e32 v65, v50, v23
	v_add_f32_e32 v57, v59, v57
	v_add_f32_e32 v50, v55, v50
	v_mul_f32_e32 v26, v111, v79
	v_fma_f32 v51, v87, v53, -v13
	v_fma_f32 v12, v93, v60, -v21
	v_fmac_f32_e32 v11, v98, v66
	v_fma_f32 v13, v99, v66, -v54
	v_fmac_f32_e32 v19, v102, v70
	v_fma_f32 v21, v103, v70, -v61
	v_fma_f32 v27, v111, v78, -v69
	v_sub_f32_e32 v69, v52, v41
	v_add_f32_e32 v70, v52, v41
	v_add_f32_e32 v66, v43, v22
	v_sub_f32_e32 v67, v43, v22
	v_add_f32_e32 v52, v57, v52
	v_add_f32_e32 v43, v50, v43
	v_fmac_f32_e32 v10, v92, v60
	v_fmac_f32_e32 v26, v110, v78
	v_sub_f32_e32 v61, v71, v27
	v_add_f32_e32 v60, v71, v27
	v_sub_f32_e32 v71, v51, v42
	v_add_f32_e32 v72, v51, v42
	v_add_f32_e32 v51, v52, v51
	;; [unrolled: 1-line block ×4, first 2 shown]
	v_mul_f32_e32 v73, 0xbeb8f4ab, v61
	v_mul_f32_e32 v75, 0xbf2c7751, v61
	;; [unrolled: 1-line block ×8, first 2 shown]
	v_add_f32_e32 v51, v51, v20
	v_add_f32_e32 v43, v43, v14
	v_sub_f32_e32 v54, v112, v26
	v_mul_f32_e32 v74, 0x3f6eb680, v60
	v_mul_f32_e32 v76, 0x3f3d2fb0, v60
	;; [unrolled: 1-line block ×16, first 2 shown]
	v_fmamk_f32 v124, v53, 0x3f6eb680, v73
	v_fma_f32 v73, 0x3f6eb680, v53, -v73
	v_fmamk_f32 v126, v53, 0x3f3d2fb0, v75
	v_fma_f32 v75, 0x3f3d2fb0, v53, -v75
	;; [unrolled: 2-line block ×8, first 2 shown]
	v_add_f32_e32 v51, v51, v16
	v_add_f32_e32 v43, v43, v10
	v_mul_f32_e32 v58, 0x3f3d2fb0, v68
	v_mul_f32_e32 v59, 0x3dbcf732, v68
	v_mul_f32_e32 v94, 0xbf1a4643, v68
	v_mul_f32_e32 v95, 0xbf7ba420, v68
	v_mul_f32_e32 v96, 0xbf59a7d5, v68
	v_mul_f32_e32 v97, 0xbe8c1d8e, v68
	v_mul_f32_e32 v98, 0x3ee437d1, v68
	v_mul_f32_e32 v68, 0x3f6eb680, v68
	v_mul_f32_e32 v99, 0xbf65296c, v69
	v_mul_f32_e32 v100, 0xbf4c4adb, v69
	v_mul_f32_e32 v101, 0x3e3c28d5, v69
	v_mul_f32_e32 v102, 0x3f763a35, v69
	v_mul_f32_e32 v103, 0x3f2c7751, v69
	v_mul_f32_e32 v104, 0xbeb8f4ab, v69
	v_mul_f32_e32 v105, 0xbf7ee86f, v69
	v_mul_f32_e32 v69, 0xbf06c442, v69
	v_fmamk_f32 v125, v54, 0x3eb8f4ab, v74
	v_fmac_f32_e32 v74, 0xbeb8f4ab, v54
	v_fmamk_f32 v127, v54, 0x3f2c7751, v76
	v_fmac_f32_e32 v76, 0xbf2c7751, v54
	;; [unrolled: 2-line block ×8, first 2 shown]
	v_fmamk_f32 v54, v56, 0x3f3d2fb0, v87
	v_fma_f32 v61, 0x3f3d2fb0, v56, -v87
	v_fmamk_f32 v87, v56, 0x3dbcf732, v88
	v_fma_f32 v88, 0x3dbcf732, v56, -v88
	;; [unrolled: 2-line block ×8, first 2 shown]
	v_add_f32_e32 v124, v124, v0
	v_add_f32_e32 v73, v73, v0
	;; [unrolled: 1-line block ×18, first 2 shown]
	v_fmamk_f32 v63, v62, 0x3f2c7751, v58
	v_fmac_f32_e32 v58, 0xbf2c7751, v62
	v_fmamk_f32 v146, v62, 0x3f7ee86f, v59
	v_fmac_f32_e32 v59, 0xbf7ee86f, v62
	v_fmamk_f32 v147, v62, 0x3f4c4adb, v94
	v_fmac_f32_e32 v94, 0xbf4c4adb, v62
	v_fmamk_f32 v148, v62, 0x3e3c28d5, v95
	v_fmac_f32_e32 v95, 0xbe3c28d5, v62
	v_fmamk_f32 v149, v62, 0xbf06c442, v96
	v_fmac_f32_e32 v96, 0x3f06c442, v62
	v_fmamk_f32 v150, v62, 0xbf763a35, v97
	v_fmac_f32_e32 v97, 0x3f763a35, v62
	v_fmamk_f32 v151, v62, 0xbf65296c, v98
	v_fmac_f32_e32 v98, 0x3f65296c, v62
	v_fmamk_f32 v152, v62, 0xbeb8f4ab, v68
	v_fmac_f32_e32 v68, 0x3eb8f4ab, v62
	v_fmamk_f32 v62, v64, 0x3ee437d1, v99
	v_fma_f32 v99, 0x3ee437d1, v64, -v99
	v_fmamk_f32 v153, v64, 0xbf1a4643, v100
	v_fma_f32 v100, 0xbf1a4643, v64, -v100
	;; [unrolled: 2-line block ×8, first 2 shown]
	v_add_f32_e32 v0, v56, v0
	v_add_f32_e32 v51, v51, v6
	;; [unrolled: 1-line block ×3, first 2 shown]
	v_mul_f32_e32 v106, 0x3ee437d1, v70
	v_mul_f32_e32 v107, 0xbf1a4643, v70
	v_mul_f32_e32 v108, 0xbf7ba420, v70
	v_mul_f32_e32 v109, 0xbe8c1d8e, v70
	v_mul_f32_e32 v110, 0x3f3d2fb0, v70
	v_mul_f32_e32 v111, 0x3f6eb680, v70
	v_mul_f32_e32 v112, 0x3dbcf732, v70
	v_mul_f32_e32 v70, 0xbf59a7d5, v70
	v_add_f32_e32 v125, v125, v1
	v_add_f32_e32 v74, v74, v1
	v_add_f32_e32 v127, v127, v1
	v_add_f32_e32 v76, v76, v1
	v_add_f32_e32 v129, v129, v1
	v_add_f32_e32 v78, v78, v1
	v_add_f32_e32 v131, v131, v1
	v_add_f32_e32 v80, v80, v1
	v_add_f32_e32 v133, v133, v1
	v_add_f32_e32 v82, v82, v1
	v_add_f32_e32 v135, v135, v1
	v_add_f32_e32 v84, v84, v1
	v_add_f32_e32 v137, v137, v1
	v_add_f32_e32 v86, v86, v1
	v_add_f32_e32 v139, v139, v1
	v_add_f32_e32 v1, v60, v1
	v_add_f32_e32 v51, v51, v7
	v_add_f32_e32 v64, v64, v0
	v_add_f32_e32 v0, v43, v11
	v_fmamk_f32 v164, v65, 0x3f06c442, v70
	v_fmac_f32_e32 v70, 0xbf06c442, v65
	v_add_f32_e32 v1, v68, v1
	v_add_f32_e32 v43, v51, v13
	;; [unrolled: 1-line block ×3, first 2 shown]
	v_mul_f32_e32 v113, 0xbf7ee86f, v71
	v_mul_f32_e32 v117, 0x3f763a35, v71
	v_add_f32_e32 v51, v70, v1
	v_add_f32_e32 v1, v43, v17
	;; [unrolled: 1-line block ×3, first 2 shown]
	v_mul_f32_e32 v120, 0x3f6eb680, v72
	v_fmamk_f32 v55, v65, 0x3f65296c, v106
	v_fmamk_f32 v69, v65, 0xbe3c28d5, v108
	;; [unrolled: 1-line block ×3, first 2 shown]
	v_add_f32_e32 v54, v54, v124
	v_add_f32_e32 v63, v63, v125
	;; [unrolled: 1-line block ×11, first 2 shown]
	v_mul_f32_e32 v114, 0x3dbcf732, v72
	v_mul_f32_e32 v115, 0xbe3c28d5, v71
	;; [unrolled: 1-line block ×6, first 2 shown]
	v_fmac_f32_e32 v106, 0xbf65296c, v65
	v_fmamk_f32 v57, v65, 0x3f4c4adb, v107
	v_fmac_f32_e32 v107, 0xbf4c4adb, v65
	v_fmac_f32_e32 v108, 0x3e3c28d5, v65
	;; [unrolled: 1-line block ×3, first 2 shown]
	v_fmamk_f32 v161, v65, 0xbf2c7751, v110
	v_fmac_f32_e32 v110, 0x3f2c7751, v65
	v_fmamk_f32 v162, v65, 0x3eb8f4ab, v111
	v_fmac_f32_e32 v111, 0xbeb8f4ab, v65
	;; [unrolled: 2-line block ×3, first 2 shown]
	v_fmamk_f32 v65, v66, 0x3dbcf732, v113
	v_fmamk_f32 v52, v66, 0xbe8c1d8e, v117
	;; [unrolled: 1-line block ×3, first 2 shown]
	v_add_f32_e32 v61, v61, v73
	v_add_f32_e32 v58, v58, v74
	;; [unrolled: 1-line block ×15, first 2 shown]
	v_mul_f32_e32 v122, 0x3ee437d1, v72
	v_mul_f32_e32 v123, 0xbf06c442, v71
	v_fmamk_f32 v165, v67, 0x3f7ee86f, v114
	v_fma_f32 v113, 0x3dbcf732, v66, -v113
	v_fmac_f32_e32 v114, 0xbf7ee86f, v67
	v_fmamk_f32 v53, v66, 0xbf7ba420, v115
	v_fmamk_f32 v60, v67, 0x3e3c28d5, v116
	v_fma_f32 v115, 0xbf7ba420, v66, -v115
	v_fmamk_f32 v50, v67, 0xbf763a35, v118
	v_fma_f32 v117, 0xbe8c1d8e, v66, -v117
	v_fmac_f32_e32 v118, 0x3f763a35, v67
	v_fmamk_f32 v124, v66, 0x3f6eb680, v119
	v_fma_f32 v119, 0x3f6eb680, v66, -v119
	v_fmamk_f32 v73, v66, 0x3ee437d1, v121
	v_add_f32_e32 v89, v141, v130
	v_add_f32_e32 v95, v149, v133
	;; [unrolled: 1-line block ×16, first 2 shown]
	v_mul_f32_e32 v65, 0x3f4c4adb, v71
	v_mul_f32_e32 v71, 0x3f2c7751, v71
	v_sub_f32_e32 v77, v20, v21
	v_add_f32_e32 v20, v20, v21
	v_fmamk_f32 v74, v67, 0x3f65296c, v122
	v_add_f32_e32 v76, v155, v89
	v_add_f32_e32 v87, v161, v95
	;; [unrolled: 1-line block ×14, first 2 shown]
	v_fma_f32 v26, 0x3ee437d1, v66, -v121
	v_fmamk_f32 v61, v66, 0xbf59a7d5, v123
	v_mul_f32_e32 v62, 0xbf59a7d5, v72
	v_fma_f32 v69, 0xbf59a7d5, v66, -v123
	v_fmamk_f32 v70, v66, 0xbf1a4643, v65
	v_mul_f32_e32 v73, 0xbf1a4643, v72
	v_mul_f32_e32 v72, 0x3f3d2fb0, v72
	v_fma_f32 v65, 0xbf1a4643, v66, -v65
	v_fmamk_f32 v75, v66, 0x3f3d2fb0, v71
	v_add_f32_e32 v78, v18, v19
	v_mul_f32_e32 v21, 0xbf763a35, v77
	v_fma_f32 v66, 0x3f3d2fb0, v66, -v71
	v_sub_f32_e32 v18, v18, v19
	v_mul_f32_e32 v19, 0xbe8c1d8e, v20
	v_fmac_f32_e32 v116, 0xbe3c28d5, v67
	v_fmac_f32_e32 v120, 0x3eb8f4ab, v67
	v_add_f32_e32 v55, v165, v55
	v_add_f32_e32 v41, v124, v76
	;; [unrolled: 1-line block ×3, first 2 shown]
	v_fmac_f32_e32 v122, 0xbf65296c, v67
	v_add_f32_e32 v27, v74, v87
	v_fmamk_f32 v68, v67, 0x3f06c442, v62
	v_fmac_f32_e32 v62, 0xbf06c442, v67
	v_fmamk_f32 v74, v67, 0xbf4c4adb, v73
	v_fmac_f32_e32 v73, 0x3f4c4adb, v67
	;; [unrolled: 2-line block ×3, first 2 shown]
	v_fmamk_f32 v67, v78, 0xbe8c1d8e, v21
	v_add_f32_e32 v64, v66, v64
	v_mul_f32_e32 v66, 0x3f06c442, v77
	v_fmamk_f32 v71, v18, 0x3f763a35, v19
	v_add_f32_e32 v59, v107, v59
	v_add_f32_e32 v54, v67, v54
	v_fma_f32 v21, 0xbe8c1d8e, v78, -v21
	v_fmac_f32_e32 v19, 0xbf763a35, v18
	v_fmamk_f32 v67, v78, 0xbf59a7d5, v66
	v_add_f32_e32 v55, v71, v55
	v_mul_f32_e32 v71, 0xbf59a7d5, v20
	v_add_f32_e32 v59, v116, v59
	v_add_f32_e32 v21, v21, v43
	v_add_f32_e32 v19, v19, v56
	v_add_f32_e32 v43, v67, v53
	v_fmamk_f32 v56, v18, 0xbf06c442, v71
	v_fma_f32 v66, 0xbf59a7d5, v78, -v66
	v_fmac_f32_e32 v71, 0x3f06c442, v18
	v_mul_f32_e32 v67, 0x3f3d2fb0, v20
	v_mul_f32_e32 v53, 0x3f2c7751, v77
	v_add_f32_e32 v56, v56, v57
	v_add_f32_e32 v57, v66, v58
	;; [unrolled: 1-line block ×3, first 2 shown]
	v_fmamk_f32 v59, v18, 0xbf2c7751, v67
	v_add_f32_e32 v51, v72, v51
	v_fmamk_f32 v72, v78, 0x3f3d2fb0, v53
	v_mul_f32_e32 v66, 0xbf65296c, v77
	v_fma_f32 v53, 0x3f3d2fb0, v78, -v53
	v_fmac_f32_e32 v67, 0x3f2c7751, v18
	v_add_f32_e32 v42, v59, v42
	v_mul_f32_e32 v59, 0x3ee437d1, v20
	v_add_f32_e32 v81, v91, v81
	v_add_f32_e32 v82, v96, v82
	v_fmamk_f32 v71, v78, 0x3ee437d1, v66
	v_add_f32_e32 v50, v53, v50
	v_add_f32_e32 v23, v67, v23
	v_mul_f32_e32 v53, 0xbe3c28d5, v77
	v_fmamk_f32 v67, v18, 0x3f65296c, v59
	v_add_f32_e32 v96, v150, v135
	v_add_f32_e32 v83, v92, v83
	;; [unrolled: 1-line block ×6, first 2 shown]
	v_fma_f32 v66, 0x3ee437d1, v78, -v66
	v_fmac_f32_e32 v59, 0xbf65296c, v18
	v_fmamk_f32 v71, v78, 0xbf7ba420, v53
	v_add_f32_e32 v52, v67, v52
	v_mul_f32_e32 v67, 0xbf7ba420, v20
	v_add_f32_e32 v84, v97, v84
	v_add_f32_e32 v92, v144, v136
	;; [unrolled: 1-line block ×9, first 2 shown]
	v_mul_f32_e32 v60, 0x3f7ee86f, v77
	v_fmamk_f32 v66, v18, 0x3e3c28d5, v67
	v_fma_f32 v53, 0xbf7ba420, v78, -v53
	v_fmac_f32_e32 v67, 0xbe3c28d5, v18
	v_mul_f32_e32 v71, 0x3dbcf732, v20
	v_add_f32_e32 v85, v93, v85
	v_add_f32_e32 v86, v98, v86
	;; [unrolled: 1-line block ×8, first 2 shown]
	v_fmamk_f32 v72, v78, 0x3dbcf732, v60
	v_add_f32_e32 v27, v66, v27
	v_add_f32_e32 v26, v53, v26
	;; [unrolled: 1-line block ×3, first 2 shown]
	v_fmamk_f32 v63, v18, 0xbf7ee86f, v71
	v_mul_f32_e32 v66, 0xbeb8f4ab, v77
	v_fma_f32 v60, 0x3dbcf732, v78, -v60
	v_add_f32_e32 v91, v143, v134
	v_add_f32_e32 v85, v105, v85
	;; [unrolled: 1-line block ×6, first 2 shown]
	v_fmac_f32_e32 v71, 0x3f7ee86f, v18
	v_add_f32_e32 v63, v63, v68
	v_mul_f32_e32 v67, 0x3f6eb680, v20
	v_fmamk_f32 v68, v78, 0x3f6eb680, v66
	v_add_f32_e32 v60, v60, v69
	v_mul_f32_e32 v69, 0xbf4c4adb, v77
	v_add_f32_e32 v98, v152, v139
	v_add_f32_e32 v88, v157, v91
	;; [unrolled: 1-line block ×6, first 2 shown]
	v_fmamk_f32 v71, v18, 0x3eb8f4ab, v67
	v_add_f32_e32 v68, v68, v70
	v_fma_f32 v66, 0x3f6eb680, v78, -v66
	v_fmac_f32_e32 v67, 0xbeb8f4ab, v18
	v_fmamk_f32 v70, v78, 0xbf1a4643, v69
	v_add_f32_e32 v93, v164, v98
	v_add_f32_e32 v61, v61, v88
	v_mul_f32_e32 v20, 0xbf1a4643, v20
	v_add_f32_e32 v65, v66, v65
	v_add_f32_e32 v66, v67, v73
	;; [unrolled: 1-line block ×3, first 2 shown]
	v_sub_f32_e32 v70, v16, v17
	v_add_f32_e32 v16, v16, v17
	v_add_f32_e32 v97, v151, v137
	;; [unrolled: 1-line block ×4, first 2 shown]
	v_fmamk_f32 v72, v18, 0x3f4c4adb, v20
	v_fma_f32 v69, 0xbf1a4643, v78, -v69
	v_add_f32_e32 v17, v14, v15
	v_mul_f32_e32 v73, 0xbf4c4adb, v70
	v_fmac_f32_e32 v20, 0xbf4c4adb, v18
	v_sub_f32_e32 v14, v14, v15
	v_mul_f32_e32 v15, 0xbf1a4643, v16
	v_add_f32_e32 v91, v163, v97
	v_add_f32_e32 v18, v72, v76
	v_fmamk_f32 v72, v17, 0xbf1a4643, v73
	v_add_f32_e32 v64, v69, v64
	v_add_f32_e32 v20, v20, v51
	v_fmamk_f32 v51, v14, 0x3f4c4adb, v15
	v_mul_f32_e32 v69, 0x3f763a35, v70
	v_add_f32_e32 v74, v74, v91
	v_add_f32_e32 v54, v72, v54
	v_fma_f32 v72, 0xbf1a4643, v17, -v73
	v_fmac_f32_e32 v15, 0xbf4c4adb, v14
	v_add_f32_e32 v51, v51, v55
	v_fmamk_f32 v55, v17, 0xbe8c1d8e, v69
	v_mul_f32_e32 v73, 0xbe8c1d8e, v16
	v_add_f32_e32 v71, v71, v74
	v_add_f32_e32 v15, v15, v19
	v_mul_f32_e32 v19, 0xbeb8f4ab, v70
	v_add_f32_e32 v43, v55, v43
	v_fmamk_f32 v55, v14, 0xbf763a35, v73
	v_fma_f32 v69, 0xbe8c1d8e, v17, -v69
	v_fmac_f32_e32 v73, 0x3f763a35, v14
	v_mul_f32_e32 v74, 0x3f6eb680, v16
	v_add_f32_e32 v21, v72, v21
	v_fmamk_f32 v72, v17, 0x3f6eb680, v19
	v_add_f32_e32 v55, v55, v56
	v_add_f32_e32 v56, v69, v57
	v_add_f32_e32 v57, v73, v58
	v_fmamk_f32 v58, v14, 0x3eb8f4ab, v74
	v_mul_f32_e32 v69, 0xbf06c442, v70
	v_add_f32_e32 v22, v72, v22
	v_fma_f32 v19, 0x3f6eb680, v17, -v19
	v_mul_f32_e32 v72, 0xbf59a7d5, v16
	v_add_f32_e32 v42, v58, v42
	v_fmamk_f32 v58, v17, 0xbf59a7d5, v69
	v_mul_f32_e32 v73, 0x3f7ee86f, v70
	v_add_f32_e32 v19, v19, v50
	v_fmamk_f32 v50, v14, 0x3f06c442, v72
	v_fmac_f32_e32 v74, 0xbeb8f4ab, v14
	v_add_f32_e32 v41, v58, v41
	v_fma_f32 v58, 0xbf59a7d5, v17, -v69
	v_fmac_f32_e32 v72, 0xbf06c442, v14
	v_add_f32_e32 v50, v50, v52
	v_fmamk_f32 v52, v17, 0x3dbcf732, v73
	v_mul_f32_e32 v69, 0x3dbcf732, v16
	v_add_f32_e32 v25, v58, v25
	v_mul_f32_e32 v58, 0xbf2c7751, v70
	v_add_f32_e32 v23, v74, v23
	v_add_f32_e32 v40, v72, v40
	;; [unrolled: 1-line block ×3, first 2 shown]
	v_fmamk_f32 v59, v14, 0xbf7ee86f, v69
	v_fma_f32 v72, 0x3dbcf732, v17, -v73
	v_fmac_f32_e32 v69, 0x3f7ee86f, v14
	v_fmamk_f32 v73, v17, 0x3f3d2fb0, v58
	v_mul_f32_e32 v74, 0x3f3d2fb0, v16
	v_add_f32_e32 v27, v59, v27
	v_add_f32_e32 v26, v72, v26
	;; [unrolled: 1-line block ×4, first 2 shown]
	v_fmamk_f32 v61, v14, 0x3f2c7751, v74
	v_mul_f32_e32 v69, 0xbe3c28d5, v70
	v_fma_f32 v58, 0x3f3d2fb0, v17, -v58
	v_mul_f32_e32 v72, 0xbf7ba420, v16
	v_mul_f32_e32 v70, 0x3f65296c, v70
	v_add_f32_e32 v61, v61, v63
	v_fmamk_f32 v63, v17, 0xbf7ba420, v69
	v_add_f32_e32 v58, v58, v60
	v_fmamk_f32 v60, v14, 0x3e3c28d5, v72
	v_fmac_f32_e32 v72, 0xbe3c28d5, v14
	v_mul_f32_e32 v16, 0x3ee437d1, v16
	v_add_f32_e32 v63, v63, v68
	v_fma_f32 v68, 0xbf7ba420, v17, -v69
	v_add_f32_e32 v60, v60, v71
	v_fmamk_f32 v69, v17, 0x3ee437d1, v70
	v_add_f32_e32 v66, v72, v66
	v_add_f32_e32 v71, v10, v11
	;; [unrolled: 1-line block ×3, first 2 shown]
	v_sub_f32_e32 v68, v12, v13
	v_add_f32_e32 v12, v12, v13
	v_fmac_f32_e32 v74, 0xbf2c7751, v14
	v_add_f32_e32 v67, v69, v67
	v_fmamk_f32 v69, v14, 0xbf65296c, v16
	v_mul_f32_e32 v72, 0xbf06c442, v68
	v_fma_f32 v13, 0x3ee437d1, v17, -v70
	v_fmac_f32_e32 v16, 0x3f65296c, v14
	v_sub_f32_e32 v10, v10, v11
	v_mul_f32_e32 v14, 0xbf59a7d5, v12
	v_fmamk_f32 v11, v71, 0xbf59a7d5, v72
	v_add_f32_e32 v17, v69, v18
	v_add_f32_e32 v13, v13, v64
	;; [unrolled: 1-line block ×3, first 2 shown]
	v_fmamk_f32 v18, v10, 0x3f06c442, v14
	v_add_f32_e32 v11, v11, v54
	v_mul_f32_e32 v20, 0x3f65296c, v68
	v_fma_f32 v54, 0xbf59a7d5, v71, -v72
	v_fmac_f32_e32 v14, 0xbf06c442, v10
	v_mul_f32_e32 v64, 0x3ee437d1, v12
	v_add_f32_e32 v18, v18, v51
	v_fmamk_f32 v51, v71, 0x3ee437d1, v20
	v_add_f32_e32 v21, v54, v21
	v_add_f32_e32 v14, v14, v15
	v_fmamk_f32 v15, v10, 0xbf65296c, v64
	v_mul_f32_e32 v54, 0xbf7ee86f, v68
	v_fma_f32 v20, 0x3ee437d1, v71, -v20
	v_fmac_f32_e32 v64, 0x3f65296c, v10
	v_add_f32_e32 v43, v51, v43
	v_add_f32_e32 v15, v15, v55
	v_fmamk_f32 v51, v71, 0x3dbcf732, v54
	v_mul_f32_e32 v55, 0x3dbcf732, v12
	v_add_f32_e32 v20, v20, v56
	v_add_f32_e32 v56, v64, v57
	v_mul_f32_e32 v57, 0x3f4c4adb, v68
	v_add_f32_e32 v22, v51, v22
	v_fmamk_f32 v51, v10, 0x3f7ee86f, v55
	v_fma_f32 v54, 0x3dbcf732, v71, -v54
	v_fmac_f32_e32 v55, 0xbf7ee86f, v10
	v_fmamk_f32 v64, v71, 0xbf1a4643, v57
	v_mul_f32_e32 v69, 0xbf1a4643, v12
	v_add_f32_e32 v42, v51, v42
	v_add_f32_e32 v19, v54, v19
	;; [unrolled: 1-line block ×4, first 2 shown]
	v_fmamk_f32 v41, v10, 0xbf4c4adb, v69
	v_mul_f32_e32 v54, 0xbeb8f4ab, v68
	v_fma_f32 v55, 0xbf1a4643, v71, -v57
	v_fmac_f32_e32 v69, 0x3f4c4adb, v10
	v_mul_f32_e32 v57, 0x3f6eb680, v12
	v_add_f32_e32 v50, v41, v50
	v_fmamk_f32 v41, v71, 0x3f6eb680, v54
	v_add_f32_e32 v25, v55, v25
	v_add_f32_e32 v55, v69, v40
	v_fmamk_f32 v40, v10, 0x3eb8f4ab, v57
	v_mul_f32_e32 v64, 0xbe3c28d5, v68
	v_add_f32_e32 v52, v41, v52
	v_fma_f32 v41, 0x3f6eb680, v71, -v54
	v_fmac_f32_e32 v57, 0xbeb8f4ab, v10
	v_add_f32_e32 v27, v40, v27
	v_fmamk_f32 v40, v71, 0xbf7ba420, v64
	v_mul_f32_e32 v54, 0xbf7ba420, v12
	v_add_f32_e32 v26, v41, v26
	v_add_f32_e32 v53, v57, v53
	v_mul_f32_e32 v41, 0x3f2c7751, v68
	v_add_f32_e32 v57, v40, v59
	v_fmamk_f32 v40, v10, 0x3e3c28d5, v54
	v_mul_f32_e32 v69, 0x3f3d2fb0, v12
	v_add_f32_e32 v62, v74, v62
	v_fma_f32 v59, 0xbf7ba420, v71, -v64
	v_fmac_f32_e32 v54, 0xbe3c28d5, v10
	v_fmamk_f32 v64, v71, 0x3f3d2fb0, v41
	v_add_f32_e32 v61, v40, v61
	v_fmamk_f32 v40, v10, 0xbf2c7751, v69
	v_fma_f32 v41, 0x3f3d2fb0, v71, -v41
	v_fmac_f32_e32 v69, 0x3f2c7751, v10
	v_add_f32_e32 v58, v59, v58
	v_add_f32_e32 v54, v54, v62
	;; [unrolled: 1-line block ×3, first 2 shown]
	v_mul_f32_e32 v62, 0xbf763a35, v68
	v_add_f32_e32 v64, v41, v65
	v_add_f32_e32 v65, v69, v66
	v_sub_f32_e32 v66, v6, v7
	v_mul_f32_e32 v12, 0xbe8c1d8e, v12
	v_add_f32_e32 v68, v4, v5
	v_add_f32_e32 v69, v6, v7
	v_fma_f32 v7, 0xbe8c1d8e, v71, -v62
	v_mul_f32_e32 v6, 0xbe3c28d5, v66
	v_add_f32_e32 v60, v40, v60
	v_fmamk_f32 v40, v71, 0xbe8c1d8e, v62
	v_fmamk_f32 v63, v10, 0x3f763a35, v12
	v_fmac_f32_e32 v12, 0xbf763a35, v10
	v_sub_f32_e32 v62, v4, v5
	v_mul_f32_e32 v10, 0xbf7ba420, v69
	v_fmamk_f32 v4, v68, 0xbf7ba420, v6
	v_add_f32_e32 v70, v7, v13
	v_mul_f32_e32 v7, 0x3eb8f4ab, v66
	v_add_f32_e32 v71, v12, v16
	v_fmamk_f32 v5, v62, 0x3e3c28d5, v10
	v_add_f32_e32 v4, v4, v11
	v_fma_f32 v6, 0xbf7ba420, v68, -v6
	v_fmac_f32_e32 v10, 0xbe3c28d5, v62
	v_fmamk_f32 v11, v68, 0x3f6eb680, v7
	v_mul_f32_e32 v12, 0x3f6eb680, v69
	v_mul_f32_e32 v13, 0xbf06c442, v66
	v_add_f32_e32 v67, v40, v67
	v_add_f32_e32 v40, v6, v21
	;; [unrolled: 1-line block ×4, first 2 shown]
	v_fmamk_f32 v10, v62, 0xbeb8f4ab, v12
	v_fma_f32 v11, 0x3f6eb680, v68, -v7
	v_fmac_f32_e32 v12, 0x3eb8f4ab, v62
	v_mul_f32_e32 v16, 0xbf59a7d5, v69
	v_fmamk_f32 v14, v68, 0xbf59a7d5, v13
	v_add_f32_e32 v63, v63, v17
	v_add_f32_e32 v7, v10, v15
	;; [unrolled: 1-line block ×4, first 2 shown]
	v_fmamk_f32 v15, v62, 0x3f06c442, v16
	v_add_f32_e32 v12, v14, v22
	v_mul_f32_e32 v17, 0x3f2c7751, v66
	v_fma_f32 v14, 0xbf59a7d5, v68, -v13
	v_fmac_f32_e32 v16, 0xbf06c442, v62
	v_mul_f32_e32 v20, 0x3f3d2fb0, v69
	v_mul_f32_e32 v21, 0xbf4c4adb, v66
	v_add_f32_e32 v5, v5, v18
	v_add_f32_e32 v13, v15, v42
	v_fmamk_f32 v18, v68, 0x3f3d2fb0, v17
	v_add_f32_e32 v14, v14, v19
	v_add_f32_e32 v15, v16, v23
	v_fmamk_f32 v19, v62, 0xbf2c7751, v20
	v_fmac_f32_e32 v20, 0x3f2c7751, v62
	v_fmamk_f32 v22, v68, 0xbf1a4643, v21
	v_mul_f32_e32 v23, 0xbf1a4643, v69
	v_add_f32_e32 v16, v18, v51
	v_fma_f32 v18, 0x3f3d2fb0, v68, -v17
	v_add_f32_e32 v17, v19, v50
	v_add_f32_e32 v19, v20, v55
	;; [unrolled: 1-line block ×3, first 2 shown]
	v_mul_f32_e32 v42, 0x3f65296c, v66
	v_fmamk_f32 v22, v62, 0x3f4c4adb, v23
	v_add_f32_e32 v18, v18, v25
	v_fma_f32 v25, 0xbf1a4643, v68, -v21
	v_mul_f32_e32 v43, 0x3ee437d1, v69
	v_fmamk_f32 v50, v68, 0x3ee437d1, v42
	v_add_f32_e32 v21, v22, v27
	v_mul_f32_e32 v27, 0xbf763a35, v66
	v_add_f32_e32 v22, v25, v26
	v_fmac_f32_e32 v23, 0xbf4c4adb, v62
	v_add_f32_e32 v25, v50, v57
	v_fmamk_f32 v26, v62, 0xbf65296c, v43
	v_fmamk_f32 v50, v68, 0xbe8c1d8e, v27
	v_fma_f32 v27, 0xbe8c1d8e, v68, -v27
	v_fmac_f32_e32 v43, 0x3f65296c, v62
	v_add_f32_e32 v23, v23, v53
	v_mul_f32_e32 v53, 0xbe8c1d8e, v69
	v_fma_f32 v42, 0x3ee437d1, v68, -v42
	v_add_f32_e32 v52, v27, v64
	v_cndmask_b32_e64 v27, 0, 0x1210, s1
	v_add_f32_e32 v43, v43, v54
	v_mul_f32_e32 v54, 0x3f7ee86f, v66
	v_mul_f32_e32 v57, 0x3dbcf732, v69
	v_fmamk_f32 v51, v62, 0x3f763a35, v53
	v_add_nc_u32_e32 v27, 0, v27
	v_add_f32_e32 v42, v42, v58
	v_fmamk_f32 v55, v68, 0x3dbcf732, v54
	v_fmamk_f32 v56, v62, 0xbf7ee86f, v57
	v_fma_f32 v58, 0x3dbcf732, v68, -v54
	v_fmac_f32_e32 v57, 0x3f7ee86f, v62
	v_add3_u32 v2, v27, v2, v44
	v_fmac_f32_e32 v53, 0xbf763a35, v62
	v_add_f32_e32 v26, v26, v61
	v_add_f32_e32 v50, v50, v59
	;; [unrolled: 1-line block ×7, first 2 shown]
	v_add_nc_u32_e32 v27, 0x800, v2
	v_add_f32_e32 v53, v53, v65
	ds_write2_b64 v2, v[0:1], v[4:5] offset1:34
	ds_write2_b64 v2, v[6:7], v[12:13] offset0:68 offset1:102
	ds_write2_b64 v2, v[16:17], v[20:21] offset0:136 offset1:170
	;; [unrolled: 1-line block ×7, first 2 shown]
	ds_write_b64 v2, v[40:41] offset:4352
	s_waitcnt lgkmcnt(0)
	s_barrier
	buffer_gl0_inv
	ds_read2_b64 v[0:3], v3 offset0:92 offset1:194
	ds_read2_b64 v[4:7], v29 offset0:68 offset1:136
	ds_read2_b64 v[16:19], v9 offset0:134 offset1:202
	ds_read2_b64 v[8:11], v8 offset0:76 offset1:144
	ds_read2_b64 v[20:23], v24 offset0:14 offset1:82
	ds_read2_b64 v[12:15], v39 offset0:84 offset1:152
	ds_read2_b64 v[24:27], v24 offset0:150 offset1:218
	ds_read_b64 v[42:43], v45
	ds_read_b64 v[44:45], v29 offset:8432
	s_and_saveexec_b32 s1, s0
	s_cbranch_execz .LBB0_24
; %bb.23:
	ds_read_b64 v[40:41], v29 offset:4352
	ds_read_b64 v[36:37], v29 offset:8976
	v_mov_b32_e32 v38, v49
.LBB0_24:
	s_or_b32 exec_lo, exec_lo, s1
	v_add_co_u32 v32, s1, s8, v32
	v_add_co_ci_u32_e64 v33, s1, s9, v33, s1
	v_add_co_u32 v57, s1, s8, v34
	v_add_co_ci_u32_e64 v58, s1, s9, v35, s1
	;; [unrolled: 2-line block ×6, first 2 shown]
	s_clause 0x7
	global_load_dwordx2 v[32:33], v[32:33], off offset:392
	global_load_dwordx2 v[51:52], v[34:35], off offset:936
	;; [unrolled: 1-line block ×8, first 2 shown]
	v_lshl_add_u32 v47, v47, 3, v48
	s_waitcnt vmcnt(0) lgkmcnt(0)
	s_barrier
	buffer_gl0_inv
	v_add_nc_u32_e32 v48, 0x1000, v47
	v_add_nc_u32_e32 v61, 0x1800, v47
	v_mul_f32_e32 v62, v33, v3
	v_mul_f32_e32 v33, v33, v2
	;; [unrolled: 1-line block ×16, first 2 shown]
	v_fmac_f32_e32 v62, v32, v2
	v_fma_f32 v3, v32, v3, -v33
	v_fmac_f32_e32 v63, v51, v16
	v_fma_f32 v17, v51, v17, -v52
	;; [unrolled: 2-line block ×8, first 2 shown]
	v_sub_f32_e32 v2, v42, v62
	v_sub_f32_e32 v3, v43, v3
	;; [unrolled: 1-line block ×16, first 2 shown]
	v_fma_f32 v34, v42, 2.0, -v2
	v_fma_f32 v35, v43, 2.0, -v3
	;; [unrolled: 1-line block ×16, first 2 shown]
	ds_write_b64 v29, v[2:3] offset:4624
	ds_write2_b64 v48, v[16:17], v[18:19] offset0:134 offset1:202
	ds_write2_b64 v61, v[20:21], v[22:23] offset0:14 offset1:82
	;; [unrolled: 1-line block ×3, first 2 shown]
	ds_write2_b64 v29, v[34:35], v[4:5] offset1:68
	ds_write2_b64 v29, v[6:7], v[8:9] offset0:136 offset1:204
	ds_write2_b64 v39, v[10:11], v[12:13] offset0:16 offset1:84
	;; [unrolled: 1-line block ×3, first 2 shown]
	ds_write_b64 v47, v[32:33] offset:8432
	s_and_saveexec_b32 s1, s0
	s_cbranch_execz .LBB0_26
; %bb.25:
	v_mov_b32_e32 v39, 0
	v_lshlrev_b64 v[0:1], 3, v[38:39]
	v_add_co_u32 v0, s0, s8, v0
	v_add_co_ci_u32_e64 v1, s0, s9, v1, s0
	v_add_co_u32 v0, s0, 0x1000, v0
	v_add_co_ci_u32_e64 v1, s0, 0, v1, s0
	global_load_dwordx2 v[0:1], v[0:1], off offset:392
	s_waitcnt vmcnt(0)
	v_mul_f32_e32 v2, v36, v1
	v_mul_f32_e32 v3, v37, v1
	v_fma_f32 v1, v37, v0, -v2
	v_fmac_f32_e32 v3, v36, v0
	v_sub_f32_e32 v1, v41, v1
	v_sub_f32_e32 v0, v40, v3
	v_fma_f32 v3, v41, 2.0, -v1
	v_fma_f32 v2, v40, 2.0, -v0
	ds_write_b64 v29, v[2:3] offset:4352
	ds_write_b64 v29, v[0:1] offset:8976
.LBB0_26:
	s_or_b32 exec_lo, exec_lo, s1
	s_waitcnt lgkmcnt(0)
	s_barrier
	buffer_gl0_inv
	s_and_saveexec_b32 s0, vcc_lo
	s_cbranch_execz .LBB0_28
; %bb.27:
	v_mov_b32_e32 v29, 0
	v_lshl_add_u32 v22, v28, 3, v46
	v_add_nc_u32_e32 v4, 0x44, v28
	v_add_co_u32 v23, vcc_lo, s2, v30
	v_mov_b32_e32 v5, v29
	ds_read2_b64 v[0:3], v22 offset1:68
	v_lshlrev_b64 v[6:7], 3, v[28:29]
	v_add_co_ci_u32_e32 v24, vcc_lo, s3, v31, vcc_lo
	v_lshlrev_b64 v[4:5], 3, v[4:5]
	v_add_nc_u32_e32 v10, 0x88, v28
	v_mov_b32_e32 v11, v29
	v_add_co_u32 v8, vcc_lo, v23, v6
	v_add_co_ci_u32_e32 v9, vcc_lo, v24, v7, vcc_lo
	v_add_co_u32 v12, vcc_lo, v23, v4
	v_add_co_ci_u32_e32 v13, vcc_lo, v24, v5, vcc_lo
	ds_read2_b64 v[4:7], v22 offset0:136 offset1:204
	v_add_nc_u32_e32 v14, 0xcc, v28
	v_mov_b32_e32 v15, v29
	v_lshlrev_b64 v[10:11], 3, v[10:11]
	s_waitcnt lgkmcnt(1)
	global_store_dwordx2 v[8:9], v[0:1], off
	global_store_dwordx2 v[12:13], v[2:3], off
	v_add_nc_u32_e32 v8, 0x110, v28
	v_lshlrev_b64 v[0:1], 3, v[14:15]
	v_mov_b32_e32 v9, v29
	v_add_co_u32 v2, vcc_lo, v23, v10
	v_add_co_ci_u32_e32 v3, vcc_lo, v24, v11, vcc_lo
	v_add_co_u32 v0, vcc_lo, v23, v0
	v_add_co_ci_u32_e32 v1, vcc_lo, v24, v1, vcc_lo
	v_add_nc_u32_e32 v14, 0x800, v22
	v_add_nc_u32_e32 v10, 0x154, v28
	v_mov_b32_e32 v11, v29
	v_lshlrev_b64 v[8:9], 3, v[8:9]
	s_waitcnt lgkmcnt(0)
	global_store_dwordx2 v[2:3], v[4:5], off
	global_store_dwordx2 v[0:1], v[6:7], off
	ds_read2_b64 v[0:3], v14 offset0:16 offset1:84
	v_add_nc_u32_e32 v12, 0x198, v28
	v_mov_b32_e32 v13, v29
	v_lshlrev_b64 v[10:11], 3, v[10:11]
	ds_read2_b64 v[4:7], v14 offset0:152 offset1:220
	v_add_co_u32 v14, vcc_lo, v23, v8
	v_add_co_ci_u32_e32 v15, vcc_lo, v24, v9, vcc_lo
	v_lshlrev_b64 v[8:9], 3, v[12:13]
	v_add_co_u32 v12, vcc_lo, v23, v10
	v_add_nc_u32_e32 v25, 0x1000, v22
	v_add_co_ci_u32_e32 v13, vcc_lo, v24, v11, vcc_lo
	v_add_co_u32 v18, vcc_lo, v23, v8
	v_add_nc_u32_e32 v16, 0x1dc, v28
	v_mov_b32_e32 v17, v29
	v_add_co_ci_u32_e32 v19, vcc_lo, v24, v9, vcc_lo
	ds_read2_b64 v[8:11], v25 offset0:32 offset1:100
	v_add_nc_u32_e32 v20, 0x220, v28
	v_mov_b32_e32 v21, v29
	v_lshlrev_b64 v[16:17], 3, v[16:17]
	s_waitcnt lgkmcnt(2)
	global_store_dwordx2 v[14:15], v[0:1], off
	global_store_dwordx2 v[12:13], v[2:3], off
	s_waitcnt lgkmcnt(1)
	global_store_dwordx2 v[18:19], v[4:5], off
	v_add_nc_u32_e32 v4, 0x264, v28
	v_mov_b32_e32 v5, v29
	v_lshlrev_b64 v[0:1], 3, v[20:21]
	v_add_nc_u32_e32 v12, 0x2a8, v28
	v_add_co_u32 v2, vcc_lo, v23, v16
	v_add_co_ci_u32_e32 v3, vcc_lo, v24, v17, vcc_lo
	v_add_co_u32 v0, vcc_lo, v23, v0
	v_add_co_ci_u32_e32 v1, vcc_lo, v24, v1, vcc_lo
	global_store_dwordx2 v[2:3], v[6:7], off
	s_waitcnt lgkmcnt(0)
	global_store_dwordx2 v[0:1], v[8:9], off
	v_mov_b32_e32 v13, v29
	ds_read2_b64 v[0:3], v25 offset0:168 offset1:236
	v_lshlrev_b64 v[4:5], 3, v[4:5]
	v_add_nc_u32_e32 v8, 0x2ec, v28
	v_mov_b32_e32 v9, v29
	v_lshlrev_b64 v[6:7], 3, v[12:13]
	v_add_nc_u32_e32 v12, 0x330, v28
	v_add_nc_u32_e32 v14, 0x1800, v22
	v_add_co_u32 v4, vcc_lo, v23, v4
	v_lshlrev_b64 v[8:9], 3, v[8:9]
	v_add_co_ci_u32_e32 v5, vcc_lo, v24, v5, vcc_lo
	v_add_co_u32 v6, vcc_lo, v23, v6
	v_add_co_ci_u32_e32 v7, vcc_lo, v24, v7, vcc_lo
	v_add_co_u32 v8, vcc_lo, v23, v8
	v_add_co_ci_u32_e32 v9, vcc_lo, v24, v9, vcc_lo
	global_store_dwordx2 v[4:5], v[10:11], off
	s_waitcnt lgkmcnt(0)
	global_store_dwordx2 v[6:7], v[0:1], off
	global_store_dwordx2 v[8:9], v[2:3], off
	v_lshlrev_b64 v[4:5], 3, v[12:13]
	v_add_nc_u32_e32 v6, 0x374, v28
	v_mov_b32_e32 v7, v29
	ds_read2_b64 v[0:3], v14 offset0:48 offset1:116
	v_add_nc_u32_e32 v8, 0x3b8, v28
	v_mov_b32_e32 v9, v29
	v_add_co_u32 v10, vcc_lo, v23, v4
	v_add_co_ci_u32_e32 v11, vcc_lo, v24, v5, vcc_lo
	v_lshlrev_b64 v[12:13], 3, v[6:7]
	ds_read2_b64 v[4:7], v14 offset0:184 offset1:252
	v_add_nc_u32_e32 v14, 0x3fc, v28
	v_mov_b32_e32 v15, v29
	ds_read_b64 v[16:17], v22 offset:8704
	v_lshlrev_b64 v[8:9], 3, v[8:9]
	v_add_nc_u32_e32 v28, 0x440, v28
	v_add_co_u32 v12, vcc_lo, v23, v12
	v_lshlrev_b64 v[14:15], 3, v[14:15]
	v_add_co_ci_u32_e32 v13, vcc_lo, v24, v13, vcc_lo
	v_add_co_u32 v8, vcc_lo, v23, v8
	v_lshlrev_b64 v[18:19], 3, v[28:29]
	v_add_co_ci_u32_e32 v9, vcc_lo, v24, v9, vcc_lo
	v_add_co_u32 v14, vcc_lo, v23, v14
	v_add_co_ci_u32_e32 v15, vcc_lo, v24, v15, vcc_lo
	v_add_co_u32 v18, vcc_lo, v23, v18
	v_add_co_ci_u32_e32 v19, vcc_lo, v24, v19, vcc_lo
	s_waitcnt lgkmcnt(2)
	global_store_dwordx2 v[10:11], v[0:1], off
	global_store_dwordx2 v[12:13], v[2:3], off
	s_waitcnt lgkmcnt(1)
	global_store_dwordx2 v[8:9], v[4:5], off
	global_store_dwordx2 v[14:15], v[6:7], off
	s_waitcnt lgkmcnt(0)
	global_store_dwordx2 v[18:19], v[16:17], off
.LBB0_28:
	s_endpgm
	.section	.rodata,"a",@progbits
	.p2align	6, 0x0
	.amdhsa_kernel fft_rtc_back_len1156_factors_17_2_17_2_wgs_204_tpt_68_halfLds_sp_ip_CI_unitstride_sbrr_C2R_dirReg
		.amdhsa_group_segment_fixed_size 0
		.amdhsa_private_segment_fixed_size 0
		.amdhsa_kernarg_size 88
		.amdhsa_user_sgpr_count 6
		.amdhsa_user_sgpr_private_segment_buffer 1
		.amdhsa_user_sgpr_dispatch_ptr 0
		.amdhsa_user_sgpr_queue_ptr 0
		.amdhsa_user_sgpr_kernarg_segment_ptr 1
		.amdhsa_user_sgpr_dispatch_id 0
		.amdhsa_user_sgpr_flat_scratch_init 0
		.amdhsa_user_sgpr_private_segment_size 0
		.amdhsa_wavefront_size32 1
		.amdhsa_uses_dynamic_stack 0
		.amdhsa_system_sgpr_private_segment_wavefront_offset 0
		.amdhsa_system_sgpr_workgroup_id_x 1
		.amdhsa_system_sgpr_workgroup_id_y 0
		.amdhsa_system_sgpr_workgroup_id_z 0
		.amdhsa_system_sgpr_workgroup_info 0
		.amdhsa_system_vgpr_workitem_id 0
		.amdhsa_next_free_vgpr 166
		.amdhsa_next_free_sgpr 21
		.amdhsa_reserve_vcc 1
		.amdhsa_reserve_flat_scratch 0
		.amdhsa_float_round_mode_32 0
		.amdhsa_float_round_mode_16_64 0
		.amdhsa_float_denorm_mode_32 3
		.amdhsa_float_denorm_mode_16_64 3
		.amdhsa_dx10_clamp 1
		.amdhsa_ieee_mode 1
		.amdhsa_fp16_overflow 0
		.amdhsa_workgroup_processor_mode 1
		.amdhsa_memory_ordered 1
		.amdhsa_forward_progress 0
		.amdhsa_shared_vgpr_count 0
		.amdhsa_exception_fp_ieee_invalid_op 0
		.amdhsa_exception_fp_denorm_src 0
		.amdhsa_exception_fp_ieee_div_zero 0
		.amdhsa_exception_fp_ieee_overflow 0
		.amdhsa_exception_fp_ieee_underflow 0
		.amdhsa_exception_fp_ieee_inexact 0
		.amdhsa_exception_int_div_zero 0
	.end_amdhsa_kernel
	.text
.Lfunc_end0:
	.size	fft_rtc_back_len1156_factors_17_2_17_2_wgs_204_tpt_68_halfLds_sp_ip_CI_unitstride_sbrr_C2R_dirReg, .Lfunc_end0-fft_rtc_back_len1156_factors_17_2_17_2_wgs_204_tpt_68_halfLds_sp_ip_CI_unitstride_sbrr_C2R_dirReg
                                        ; -- End function
	.section	.AMDGPU.csdata,"",@progbits
; Kernel info:
; codeLenInByte = 16320
; NumSgprs: 23
; NumVgprs: 166
; ScratchSize: 0
; MemoryBound: 0
; FloatMode: 240
; IeeeMode: 1
; LDSByteSize: 0 bytes/workgroup (compile time only)
; SGPRBlocks: 2
; VGPRBlocks: 20
; NumSGPRsForWavesPerEU: 23
; NumVGPRsForWavesPerEU: 166
; Occupancy: 5
; WaveLimiterHint : 1
; COMPUTE_PGM_RSRC2:SCRATCH_EN: 0
; COMPUTE_PGM_RSRC2:USER_SGPR: 6
; COMPUTE_PGM_RSRC2:TRAP_HANDLER: 0
; COMPUTE_PGM_RSRC2:TGID_X_EN: 1
; COMPUTE_PGM_RSRC2:TGID_Y_EN: 0
; COMPUTE_PGM_RSRC2:TGID_Z_EN: 0
; COMPUTE_PGM_RSRC2:TIDIG_COMP_CNT: 0
	.text
	.p2alignl 6, 3214868480
	.fill 48, 4, 3214868480
	.type	__hip_cuid_ee0da69c8f3feaf2,@object ; @__hip_cuid_ee0da69c8f3feaf2
	.section	.bss,"aw",@nobits
	.globl	__hip_cuid_ee0da69c8f3feaf2
__hip_cuid_ee0da69c8f3feaf2:
	.byte	0                               ; 0x0
	.size	__hip_cuid_ee0da69c8f3feaf2, 1

	.ident	"AMD clang version 19.0.0git (https://github.com/RadeonOpenCompute/llvm-project roc-6.4.0 25133 c7fe45cf4b819c5991fe208aaa96edf142730f1d)"
	.section	".note.GNU-stack","",@progbits
	.addrsig
	.addrsig_sym __hip_cuid_ee0da69c8f3feaf2
	.amdgpu_metadata
---
amdhsa.kernels:
  - .args:
      - .actual_access:  read_only
        .address_space:  global
        .offset:         0
        .size:           8
        .value_kind:     global_buffer
      - .offset:         8
        .size:           8
        .value_kind:     by_value
      - .actual_access:  read_only
        .address_space:  global
        .offset:         16
        .size:           8
        .value_kind:     global_buffer
      - .actual_access:  read_only
        .address_space:  global
        .offset:         24
        .size:           8
        .value_kind:     global_buffer
      - .offset:         32
        .size:           8
        .value_kind:     by_value
      - .actual_access:  read_only
        .address_space:  global
        .offset:         40
        .size:           8
        .value_kind:     global_buffer
      - .actual_access:  read_only
        .address_space:  global
        .offset:         48
        .size:           8
        .value_kind:     global_buffer
      - .offset:         56
        .size:           4
        .value_kind:     by_value
      - .actual_access:  read_only
        .address_space:  global
        .offset:         64
        .size:           8
        .value_kind:     global_buffer
      - .actual_access:  read_only
        .address_space:  global
        .offset:         72
        .size:           8
        .value_kind:     global_buffer
      - .address_space:  global
        .offset:         80
        .size:           8
        .value_kind:     global_buffer
    .group_segment_fixed_size: 0
    .kernarg_segment_align: 8
    .kernarg_segment_size: 88
    .language:       OpenCL C
    .language_version:
      - 2
      - 0
    .max_flat_workgroup_size: 204
    .name:           fft_rtc_back_len1156_factors_17_2_17_2_wgs_204_tpt_68_halfLds_sp_ip_CI_unitstride_sbrr_C2R_dirReg
    .private_segment_fixed_size: 0
    .sgpr_count:     23
    .sgpr_spill_count: 0
    .symbol:         fft_rtc_back_len1156_factors_17_2_17_2_wgs_204_tpt_68_halfLds_sp_ip_CI_unitstride_sbrr_C2R_dirReg.kd
    .uniform_work_group_size: 1
    .uses_dynamic_stack: false
    .vgpr_count:     166
    .vgpr_spill_count: 0
    .wavefront_size: 32
    .workgroup_processor_mode: 1
amdhsa.target:   amdgcn-amd-amdhsa--gfx1030
amdhsa.version:
  - 1
  - 2
...

	.end_amdgpu_metadata
